;; amdgpu-corpus repo=ROCm/rocFFT kind=compiled arch=gfx1100 opt=O3
	.text
	.amdgcn_target "amdgcn-amd-amdhsa--gfx1100"
	.amdhsa_code_object_version 6
	.protected	bluestein_single_fwd_len3840_dim1_dp_op_CI_CI ; -- Begin function bluestein_single_fwd_len3840_dim1_dp_op_CI_CI
	.globl	bluestein_single_fwd_len3840_dim1_dp_op_CI_CI
	.p2align	8
	.type	bluestein_single_fwd_len3840_dim1_dp_op_CI_CI,@function
bluestein_single_fwd_len3840_dim1_dp_op_CI_CI: ; @bluestein_single_fwd_len3840_dim1_dp_op_CI_CI
; %bb.0:
	s_load_b128 s[16:19], s[0:1], 0x28
	v_mov_b32_e32 v253, v0
	s_mov_b32 s2, s15
	s_mov_b32 s3, 0
	s_mov_b32 s5, exec_lo
	s_waitcnt lgkmcnt(0)
	v_cmpx_lt_u64_e64 s[2:3], s[16:17]
	s_cbranch_execz .LBB0_2
; %bb.1:
	s_clause 0x1
	s_load_b128 s[4:7], s[0:1], 0x18
	s_load_b128 s[8:11], s[0:1], 0x0
	v_dual_mov_b32 v7, s3 :: v_dual_mov_b32 v6, s2
	v_or_b32_e32 v113, 0x180, v253
	v_or_b32_e32 v10, 0x300, v253
	;; [unrolled: 1-line block ×4, first 2 shown]
	scratch_store_b64 off, v[6:7], off      ; 8-byte Folded Spill
	v_or_b32_e32 v199, 0x200, v253
	v_lshlrev_b32_e32 v10, 4, v10
	v_lshlrev_b32_e32 v14, 4, v14
	;; [unrolled: 1-line block ×3, first 2 shown]
	v_or_b32_e32 v172, 0x380, v253
	v_or_b32_e32 v201, 0x100, v253
	;; [unrolled: 1-line block ×6, first 2 shown]
	s_mov_b32 s16, 0x134454ff
	s_waitcnt lgkmcnt(0)
	s_load_b128 s[12:15], s[4:5], 0x0
	s_add_u32 s2, s8, 0xf000
	s_addc_u32 s3, s9, 0
	s_mov_b32 s17, 0x3fee6f0e
	s_mov_b32 s20, 0x9b97f4a8
	;; [unrolled: 1-line block ×7, first 2 shown]
	s_load_b64 s[0:1], s[0:1], 0x38
	v_lshlrev_b32_e32 v254, 4, v253
	s_delay_alu instid0(VALU_DEP_1)
	v_or_b32_e32 v22, 0x7800, v254
	v_or_b32_e32 v26, 0x9000, v254
	;; [unrolled: 1-line block ×4, first 2 shown]
	s_waitcnt lgkmcnt(0)
	v_mad_u64_u32 v[0:1], null, s14, v6, 0
	v_mad_u64_u32 v[2:3], null, s12, v253, 0
	s_mul_i32 s4, s13, 0x1800
	s_mul_hi_u32 s14, s12, 0x1800
	s_mul_i32 s5, s12, 0x1800
	s_add_i32 s4, s14, s4
	v_or_b32_e32 v38, 0xd800, v254
	v_or_b32_e32 v112, 0xd000, v254
	s_delay_alu instid0(VALU_DEP_3) | instskip(SKIP_1) | instid1(VALU_DEP_1)
	v_mad_u64_u32 v[4:5], null, s15, v6, v[1:2]
	s_mov_b32 s15, 0xbfe2cf23
	v_mad_u64_u32 v[5:6], null, s13, v253, v[3:4]
	v_mov_b32_e32 v1, v4
	s_mul_i32 s13, s13, 0xffff3000
	v_lshlrev_b32_e32 v6, 4, v113
	s_sub_i32 s13, s13, s12
	s_delay_alu instid0(VALU_DEP_2) | instskip(NEXT) | instid1(VALU_DEP_4)
	v_lshlrev_b64 v[0:1], 4, v[0:1]
	v_mov_b32_e32 v3, v5
	s_delay_alu instid0(VALU_DEP_2) | instskip(NEXT) | instid1(VALU_DEP_2)
	v_add_co_u32 v0, vcc_lo, s18, v0
	v_lshlrev_b64 v[2:3], 4, v[2:3]
	s_delay_alu instid0(VALU_DEP_4) | instskip(SKIP_2) | instid1(VALU_DEP_2)
	v_add_co_ci_u32_e32 v1, vcc_lo, s19, v1, vcc_lo
	s_mov_b32 s19, 0xbfee6f0e
	s_mov_b32 s18, s16
	v_add_co_u32 v4, vcc_lo, v0, v2
	s_delay_alu instid0(VALU_DEP_2)
	v_add_co_ci_u32_e32 v5, vcc_lo, v1, v3, vcc_lo
	global_load_b128 v[48:51], v254, s[8:9]
	global_load_b128 v[0:3], v[4:5], off
	v_add_co_u32 v8, vcc_lo, v4, s5
	v_add_co_ci_u32_e32 v9, vcc_lo, s4, v5, vcc_lo
	scratch_store_b32 off, v6, off offset:524 ; 4-byte Folded Spill
	global_load_b128 v[52:55], v6, s[8:9]
	global_load_b128 v[4:7], v[8:9], off
	scratch_store_b32 off, v10, off offset:528 ; 4-byte Folded Spill
	v_add_co_u32 v12, vcc_lo, v8, s5
	v_add_co_ci_u32_e32 v13, vcc_lo, s4, v9, vcc_lo
	global_load_b128 v[56:59], v10, s[8:9]
	global_load_b128 v[8:11], v[12:13], off
	v_add_co_u32 v16, vcc_lo, v12, s5
	v_add_co_ci_u32_e32 v17, vcc_lo, s4, v13, vcc_lo
	scratch_store_b32 off, v14, off offset:532 ; 4-byte Folded Spill
	global_load_b128 v[60:63], v14, s[8:9]
	global_load_b128 v[12:15], v[16:17], off
	scratch_store_b32 off, v18, off offset:536 ; 4-byte Folded Spill
	v_add_co_u32 v20, vcc_lo, v16, s5
	v_add_co_ci_u32_e32 v21, vcc_lo, s4, v17, vcc_lo
	global_load_b128 v[64:67], v18, s[8:9]
	global_load_b128 v[16:19], v[20:21], off
	v_add_co_u32 v24, vcc_lo, v20, s5
	v_add_co_ci_u32_e32 v25, vcc_lo, s4, v21, vcc_lo
	global_load_b128 v[68:71], v22, s[8:9]
	global_load_b128 v[20:23], v[24:25], off
	;; [unrolled: 4-line block ×6, first 2 shown]
	s_waitcnt vmcnt(19)
	scratch_store_b128 off, v[48:51], off offset:136 ; 16-byte Folded Spill
	s_waitcnt vmcnt(18)
	v_mul_f64 v[40:41], v[2:3], v[50:51]
	v_mul_f64 v[42:43], v[0:1], v[50:51]
	s_waitcnt vmcnt(17)
	scratch_store_b128 off, v[52:55], off offset:120 ; 16-byte Folded Spill
	s_waitcnt vmcnt(16)
	v_mul_f64 v[46:47], v[6:7], v[54:55]
	s_waitcnt vmcnt(15)
	scratch_store_b128 off, v[56:59], off offset:104 ; 16-byte Folded Spill
	s_waitcnt vmcnt(13)
	scratch_store_b128 off, v[60:63], off offset:88 ; 16-byte Folded Spill
	;; [unrolled: 2-line block ×4, first 2 shown]
	v_fma_f64 v[0:1], v[0:1], v[48:49], v[40:41]
	v_mul_f64 v[40:41], v[4:5], v[54:55]
	v_fma_f64 v[2:3], v[2:3], v[48:49], -v[42:43]
	v_mul_f64 v[42:43], v[10:11], v[58:59]
	v_mad_u64_u32 v[48:49], null, 0xffff3000, s12, v[44:45]
	s_waitcnt vmcnt(7)
	scratch_store_b128 off, v[72:75], off offset:40 ; 16-byte Folded Spill
	v_fma_f64 v[4:5], v[4:5], v[52:53], v[46:47]
	v_mul_f64 v[46:47], v[14:15], v[62:63]
	s_waitcnt vmcnt(5)
	scratch_store_b128 off, v[76:79], off offset:24 ; 16-byte Folded Spill
	v_add_nc_u32_e32 v49, s13, v49
	s_waitcnt vmcnt(3)
	scratch_store_b128 off, v[80:83], off offset:8 ; 16-byte Folded Spill
	v_fma_f64 v[6:7], v[6:7], v[52:53], -v[40:41]
	v_mul_f64 v[40:41], v[8:9], v[58:59]
	v_fma_f64 v[8:9], v[8:9], v[56:57], v[42:43]
	v_mul_f64 v[42:43], v[18:19], v[66:67]
	global_load_b128 v[50:53], v254, s[8:9] offset:2048
	s_waitcnt vmcnt(2)
	scratch_store_b128 off, v[84:87], off offset:152 ; 16-byte Folded Spill
	v_fma_f64 v[10:11], v[10:11], v[56:57], -v[40:41]
	v_mul_f64 v[40:41], v[12:13], v[62:63]
	v_fma_f64 v[12:13], v[12:13], v[60:61], v[46:47]
	v_mul_f64 v[46:47], v[22:23], v[70:71]
	s_delay_alu instid0(VALU_DEP_3) | instskip(SKIP_3) | instid1(VALU_DEP_3)
	v_fma_f64 v[14:15], v[14:15], v[60:61], -v[40:41]
	v_mul_f64 v[40:41], v[16:17], v[66:67]
	v_fma_f64 v[16:17], v[16:17], v[64:65], v[42:43]
	v_mul_f64 v[42:43], v[26:27], v[74:75]
	v_fma_f64 v[18:19], v[18:19], v[64:65], -v[40:41]
	v_mul_f64 v[40:41], v[20:21], v[70:71]
	v_fma_f64 v[20:21], v[20:21], v[68:69], v[46:47]
	v_mul_f64 v[46:47], v[30:31], v[78:79]
	s_delay_alu instid0(VALU_DEP_3) | instskip(SKIP_3) | instid1(VALU_DEP_3)
	v_fma_f64 v[22:23], v[22:23], v[68:69], -v[40:41]
	v_mul_f64 v[40:41], v[24:25], v[74:75]
	v_fma_f64 v[24:25], v[24:25], v[72:73], v[42:43]
	v_mul_f64 v[42:43], v[34:35], v[82:83]
	v_fma_f64 v[26:27], v[26:27], v[72:73], -v[40:41]
	v_mul_f64 v[40:41], v[28:29], v[78:79]
	v_fma_f64 v[28:29], v[28:29], v[76:77], v[46:47]
	s_waitcnt vmcnt(1)
	v_mul_f64 v[46:47], v[38:39], v[86:87]
	s_delay_alu instid0(VALU_DEP_3) | instskip(SKIP_2) | instid1(VALU_DEP_2)
	v_fma_f64 v[30:31], v[30:31], v[76:77], -v[40:41]
	v_mul_f64 v[40:41], v[32:33], v[82:83]
	v_fma_f64 v[32:33], v[32:33], v[80:81], v[42:43]
	v_fma_f64 v[34:35], v[34:35], v[80:81], -v[40:41]
	v_mul_f64 v[40:41], v[36:37], v[86:87]
	v_fma_f64 v[36:37], v[36:37], v[84:85], v[46:47]
	s_delay_alu instid0(VALU_DEP_2)
	v_fma_f64 v[38:39], v[38:39], v[84:85], -v[40:41]
	global_load_b128 v[40:43], v[48:49], off
	v_add_co_u32 v48, vcc_lo, v48, s5
	v_add_co_ci_u32_e32 v49, vcc_lo, s4, v49, vcc_lo
	s_waitcnt vmcnt(1)
	scratch_store_b128 off, v[50:53], off offset:168 ; 16-byte Folded Spill
	s_waitcnt vmcnt(0)
	v_mul_f64 v[44:45], v[42:43], v[52:53]
	v_mul_f64 v[46:47], v[40:41], v[52:53]
	s_delay_alu instid0(VALU_DEP_2) | instskip(SKIP_1) | instid1(VALU_DEP_3)
	v_fma_f64 v[40:41], v[40:41], v[50:51], v[44:45]
	v_lshlrev_b32_e32 v44, 4, v199
	v_fma_f64 v[42:43], v[42:43], v[50:51], -v[46:47]
	scratch_store_b32 off, v44, off offset:488 ; 4-byte Folded Spill
	global_load_b128 v[54:57], v44, s[8:9]
	global_load_b128 v[44:47], v[48:49], off
	s_waitcnt vmcnt(0)
	v_mul_f64 v[52:53], v[44:45], v[56:57]
	v_mul_f64 v[50:51], v[46:47], v[56:57]
	s_delay_alu instid0(VALU_DEP_2)
	v_fma_f64 v[46:47], v[46:47], v[54:55], -v[52:53]
	v_add_co_u32 v52, vcc_lo, v48, s5
	v_add_co_ci_u32_e32 v53, vcc_lo, s4, v49, vcc_lo
	v_lshlrev_b32_e32 v48, 4, v172
	v_fma_f64 v[44:45], v[44:45], v[54:55], v[50:51]
	scratch_store_b32 off, v48, off offset:492 ; 4-byte Folded Spill
	global_load_b128 v[58:61], v48, s[8:9]
	global_load_b128 v[48:51], v[52:53], off
	scratch_store_b128 off, v[54:57], off offset:184 ; 16-byte Folded Spill
	s_waitcnt vmcnt(1)
	scratch_store_b128 off, v[58:61], off offset:200 ; 16-byte Folded Spill
	s_waitcnt vmcnt(0)
	v_mul_f64 v[56:57], v[48:49], v[60:61]
	v_mul_f64 v[54:55], v[50:51], v[60:61]
	s_delay_alu instid0(VALU_DEP_2) | instskip(SKIP_4) | instid1(VALU_DEP_3)
	v_fma_f64 v[50:51], v[50:51], v[58:59], -v[56:57]
	v_add_co_u32 v56, vcc_lo, v52, s5
	v_or_b32_e32 v52, 0x500, v253
	v_add_co_ci_u32_e32 v57, vcc_lo, s4, v53, vcc_lo
	v_fma_f64 v[48:49], v[48:49], v[58:59], v[54:55]
	v_lshlrev_b32_e32 v52, 4, v52
	scratch_store_b32 off, v52, off offset:496 ; 4-byte Folded Spill
	global_load_b128 v[62:65], v52, s[8:9]
	global_load_b128 v[52:55], v[56:57], off
	s_waitcnt vmcnt(0)
	v_mul_f64 v[60:61], v[52:53], v[64:65]
	v_mul_f64 v[58:59], v[54:55], v[64:65]
	s_delay_alu instid0(VALU_DEP_2) | instskip(SKIP_4) | instid1(VALU_DEP_3)
	v_fma_f64 v[54:55], v[54:55], v[62:63], -v[60:61]
	v_add_co_u32 v60, vcc_lo, v56, s5
	v_or_b32_e32 v56, 0x680, v253
	v_add_co_ci_u32_e32 v61, vcc_lo, s4, v57, vcc_lo
	v_fma_f64 v[52:53], v[52:53], v[62:63], v[58:59]
	v_lshlrev_b32_e32 v56, 4, v56
	scratch_store_b32 off, v56, off offset:500 ; 4-byte Folded Spill
	global_load_b128 v[66:69], v56, s[8:9]
	global_load_b128 v[56:59], v[60:61], off
	scratch_store_b128 off, v[62:65], off offset:216 ; 16-byte Folded Spill
	s_waitcnt vmcnt(1)
	scratch_store_b128 off, v[66:69], off offset:232 ; 16-byte Folded Spill
	s_waitcnt vmcnt(0)
	v_mul_f64 v[64:65], v[56:57], v[68:69]
	v_mul_f64 v[62:63], v[58:59], v[68:69]
	s_delay_alu instid0(VALU_DEP_2)
	v_fma_f64 v[58:59], v[58:59], v[66:67], -v[64:65]
	v_add_co_u32 v64, vcc_lo, v60, s5
	v_add_co_ci_u32_e32 v65, vcc_lo, s4, v61, vcc_lo
	v_or_b32_e32 v60, 0x8000, v254
	v_fma_f64 v[56:57], v[56:57], v[66:67], v[62:63]
	global_load_b128 v[70:73], v60, s[8:9]
	global_load_b128 v[60:63], v[64:65], off
	s_waitcnt vmcnt(0)
	v_mul_f64 v[68:69], v[60:61], v[72:73]
	v_mul_f64 v[66:67], v[62:63], v[72:73]
	s_delay_alu instid0(VALU_DEP_2)
	v_fma_f64 v[62:63], v[62:63], v[70:71], -v[68:69]
	v_add_co_u32 v68, vcc_lo, v64, s5
	v_add_co_ci_u32_e32 v69, vcc_lo, s4, v65, vcc_lo
	v_or_b32_e32 v64, 0x9800, v254
	v_fma_f64 v[60:61], v[60:61], v[70:71], v[66:67]
	global_load_b128 v[74:77], v64, s[8:9]
	global_load_b128 v[64:67], v[68:69], off
	scratch_store_b128 off, v[70:73], off offset:248 ; 16-byte Folded Spill
	s_waitcnt vmcnt(1)
	scratch_store_b128 off, v[74:77], off offset:264 ; 16-byte Folded Spill
	s_waitcnt vmcnt(0)
	v_mul_f64 v[72:73], v[64:65], v[76:77]
	v_mul_f64 v[70:71], v[66:67], v[76:77]
	s_delay_alu instid0(VALU_DEP_2)
	v_fma_f64 v[66:67], v[66:67], v[74:75], -v[72:73]
	v_add_co_u32 v72, vcc_lo, v68, s5
	v_add_co_ci_u32_e32 v73, vcc_lo, s4, v69, vcc_lo
	v_or_b32_e32 v68, 0xb000, v254
	v_fma_f64 v[64:65], v[64:65], v[74:75], v[70:71]
	global_load_b128 v[78:81], v68, s[8:9]
	global_load_b128 v[68:71], v[72:73], off
	s_waitcnt vmcnt(0)
	v_mul_f64 v[76:77], v[68:69], v[80:81]
	v_mul_f64 v[74:75], v[70:71], v[80:81]
	s_delay_alu instid0(VALU_DEP_2)
	v_fma_f64 v[70:71], v[70:71], v[78:79], -v[76:77]
	v_add_co_u32 v76, vcc_lo, v72, s5
	v_add_co_ci_u32_e32 v77, vcc_lo, s4, v73, vcc_lo
	v_or_b32_e32 v72, 0xc800, v254
	v_fma_f64 v[68:69], v[68:69], v[78:79], v[74:75]
	global_load_b128 v[82:85], v72, s[8:9]
	global_load_b128 v[72:75], v[76:77], off
	scratch_store_b128 off, v[78:81], off offset:280 ; 16-byte Folded Spill
	s_waitcnt vmcnt(1)
	scratch_store_b128 off, v[82:85], off offset:296 ; 16-byte Folded Spill
	s_waitcnt vmcnt(0)
	v_mul_f64 v[80:81], v[72:73], v[84:85]
	v_mul_f64 v[78:79], v[74:75], v[84:85]
	s_delay_alu instid0(VALU_DEP_2)
	v_fma_f64 v[74:75], v[74:75], v[82:83], -v[80:81]
	v_add_co_u32 v80, vcc_lo, v76, s5
	v_add_co_ci_u32_e32 v81, vcc_lo, s4, v77, vcc_lo
	v_or_b32_e32 v76, 0xe000, v254
	v_fma_f64 v[72:73], v[72:73], v[82:83], v[78:79]
	global_load_b128 v[86:89], v76, s[8:9]
	global_load_b128 v[76:79], v[80:81], off
	s_waitcnt vmcnt(0)
	v_mul_f64 v[84:85], v[76:77], v[88:89]
	v_mul_f64 v[82:83], v[78:79], v[88:89]
	s_delay_alu instid0(VALU_DEP_2) | instskip(SKIP_2) | instid1(VALU_DEP_4)
	v_fma_f64 v[78:79], v[78:79], v[86:87], -v[84:85]
	v_mad_u64_u32 v[84:85], null, 0xffff3000, s12, v[80:81]
	v_lshlrev_b32_e32 v80, 4, v201
	v_fma_f64 v[76:77], v[76:77], v[86:87], v[82:83]
	scratch_store_b32 off, v80, off offset:512 ; 4-byte Folded Spill
	v_add_nc_u32_e32 v85, s13, v85
	global_load_b128 v[90:93], v80, s[8:9]
	scratch_store_b128 off, v[86:89], off offset:312 ; 16-byte Folded Spill
	s_mov_b32 s12, 0x372fe950
	s_mov_b32 s13, 0x3fd3c6ef
	global_load_b128 v[80:83], v[84:85], off
	s_mov_b32 s22, s12
	s_waitcnt vmcnt(0)
	v_mul_f64 v[88:89], v[80:81], v[92:93]
	v_mul_f64 v[86:87], v[82:83], v[92:93]
	s_delay_alu instid0(VALU_DEP_2)
	v_fma_f64 v[82:83], v[82:83], v[90:91], -v[88:89]
	v_add_co_u32 v88, vcc_lo, v84, s5
	v_add_co_ci_u32_e32 v89, vcc_lo, s4, v85, vcc_lo
	v_lshlrev_b32_e32 v84, 4, v200
	scratch_store_b32 off, v84, off offset:504 ; 4-byte Folded Spill
	global_load_b128 v[94:97], v84, s[8:9]
	v_fma_f64 v[80:81], v[80:81], v[90:91], v[86:87]
	global_load_b128 v[84:87], v[88:89], off
	scratch_store_b128 off, v[90:93], off offset:328 ; 16-byte Folded Spill
	s_waitcnt vmcnt(1)
	scratch_store_b128 off, v[94:97], off offset:344 ; 16-byte Folded Spill
	s_waitcnt vmcnt(0)
	v_mul_f64 v[92:93], v[84:85], v[96:97]
	v_mul_f64 v[90:91], v[86:87], v[96:97]
	s_delay_alu instid0(VALU_DEP_2)
	v_fma_f64 v[86:87], v[86:87], v[94:95], -v[92:93]
	v_add_co_u32 v92, vcc_lo, v88, s5
	v_lshlrev_b32_e32 v88, 4, v198
	v_add_co_ci_u32_e32 v93, vcc_lo, s4, v89, vcc_lo
	v_fma_f64 v[84:85], v[84:85], v[94:95], v[90:91]
	scratch_store_b32 off, v88, off offset:508 ; 4-byte Folded Spill
	global_load_b128 v[98:101], v88, s[8:9]
	global_load_b128 v[88:91], v[92:93], off
	s_waitcnt vmcnt(1)
	scratch_store_b128 off, v[98:101], off offset:360 ; 16-byte Folded Spill
	s_waitcnt vmcnt(0)
	v_mul_f64 v[96:97], v[88:89], v[100:101]
	v_mul_f64 v[94:95], v[90:91], v[100:101]
	s_delay_alu instid0(VALU_DEP_2)
	v_fma_f64 v[90:91], v[90:91], v[98:99], -v[96:97]
	v_add_co_u32 v96, vcc_lo, v92, s5
	v_add_co_ci_u32_e32 v97, vcc_lo, s4, v93, vcc_lo
	v_lshlrev_b32_e32 v92, 4, v197
	v_fma_f64 v[88:89], v[88:89], v[98:99], v[94:95]
	scratch_store_b32 off, v92, off offset:516 ; 4-byte Folded Spill
	global_load_b128 v[102:105], v92, s[8:9]
	global_load_b128 v[92:95], v[96:97], off
	s_waitcnt vmcnt(1)
	scratch_store_b128 off, v[102:105], off offset:376 ; 16-byte Folded Spill
	s_waitcnt vmcnt(0)
	v_mul_f64 v[100:101], v[92:93], v[104:105]
	v_mul_f64 v[98:99], v[94:95], v[104:105]
	s_delay_alu instid0(VALU_DEP_2)
	v_fma_f64 v[94:95], v[94:95], v[102:103], -v[100:101]
	v_add_co_u32 v100, vcc_lo, v96, s5
	v_lshlrev_b32_e32 v96, 4, v252
	v_add_co_ci_u32_e32 v101, vcc_lo, s4, v97, vcc_lo
	v_fma_f64 v[92:93], v[92:93], v[102:103], v[98:99]
	scratch_store_b32 off, v96, off offset:520 ; 4-byte Folded Spill
	global_load_b128 v[106:109], v96, s[8:9]
	global_load_b128 v[96:99], v[100:101], off
	global_load_b128 v[124:127], v112, s[8:9]
	v_or_b32_e32 v112, 0xe800, v254
	s_waitcnt vmcnt(2)
	scratch_store_b128 off, v[106:109], off offset:392 ; 16-byte Folded Spill
	s_waitcnt vmcnt(1)
	v_mul_f64 v[104:105], v[96:97], v[108:109]
	v_mul_f64 v[102:103], v[98:99], v[108:109]
	s_waitcnt vmcnt(0)
	scratch_store_b128 off, v[124:127], off offset:456 ; 16-byte Folded Spill
	v_fma_f64 v[98:99], v[98:99], v[106:107], -v[104:105]
	v_add_co_u32 v104, vcc_lo, v100, s5
	v_add_co_ci_u32_e32 v105, vcc_lo, s4, v101, vcc_lo
	v_or_b32_e32 v100, 0x8800, v254
	v_fma_f64 v[96:97], v[96:97], v[106:107], v[102:103]
	global_load_b128 v[114:117], v100, s[8:9]
	global_load_b128 v[100:103], v[104:105], off
	s_waitcnt vmcnt(1)
	scratch_store_b128 off, v[114:117], off offset:408 ; 16-byte Folded Spill
	s_waitcnt vmcnt(0)
	v_mul_f64 v[108:109], v[100:101], v[116:117]
	v_mul_f64 v[106:107], v[102:103], v[116:117]
	s_delay_alu instid0(VALU_DEP_2)
	v_fma_f64 v[102:103], v[102:103], v[114:115], -v[108:109]
	v_add_co_u32 v108, vcc_lo, v104, s5
	v_add_co_ci_u32_e32 v109, vcc_lo, s4, v105, vcc_lo
	v_or_b32_e32 v104, 0xa000, v254
	v_fma_f64 v[100:101], v[100:101], v[114:115], v[106:107]
	global_load_b128 v[116:119], v104, s[8:9]
	global_load_b128 v[104:107], v[108:109], off
	s_waitcnt vmcnt(1)
	scratch_store_b128 off, v[116:119], off offset:424 ; 16-byte Folded Spill
	s_waitcnt vmcnt(0)
	v_mul_f64 v[114:115], v[104:105], v[118:119]
	v_mul_f64 v[110:111], v[106:107], v[118:119]
	s_delay_alu instid0(VALU_DEP_2)
	v_fma_f64 v[106:107], v[106:107], v[116:117], -v[114:115]
	v_add_co_u32 v114, vcc_lo, v108, s5
	v_add_co_ci_u32_e32 v115, vcc_lo, s4, v109, vcc_lo
	v_or_b32_e32 v108, 0xb800, v254
	v_fma_f64 v[104:105], v[104:105], v[116:117], v[110:111]
	global_load_b128 v[120:123], v108, s[8:9]
	global_load_b128 v[108:111], v[114:115], off
	s_waitcnt vmcnt(1)
	scratch_store_b128 off, v[120:123], off offset:440 ; 16-byte Folded Spill
	s_waitcnt vmcnt(0)
	v_mul_f64 v[118:119], v[108:109], v[122:123]
	v_mul_f64 v[116:117], v[110:111], v[122:123]
	s_delay_alu instid0(VALU_DEP_2) | instskip(SKIP_2) | instid1(VALU_DEP_4)
	v_fma_f64 v[110:111], v[110:111], v[120:121], -v[118:119]
	v_add_co_u32 v118, vcc_lo, v114, s5
	v_add_co_ci_u32_e32 v119, vcc_lo, s4, v115, vcc_lo
	v_fma_f64 v[108:109], v[108:109], v[120:121], v[116:117]
	global_load_b128 v[114:117], v[118:119], off
	v_add_co_u32 v118, vcc_lo, v118, s5
	v_add_co_ci_u32_e32 v119, vcc_lo, s4, v119, vcc_lo
	v_cmp_gt_u32_e32 vcc_lo, 0x78, v253
	s_waitcnt vmcnt(0)
	v_mul_f64 v[120:121], v[116:117], v[126:127]
	v_mul_f64 v[122:123], v[114:115], v[126:127]
	s_delay_alu instid0(VALU_DEP_2)
	v_fma_f64 v[114:115], v[114:115], v[124:125], v[120:121]
	global_load_b128 v[118:121], v[118:119], off
	global_load_b128 v[126:129], v112, s[8:9]
	v_fma_f64 v[116:117], v[116:117], v[124:125], -v[122:123]
	s_mov_b32 s8, 0x4755a5e
	s_mov_b32 s9, 0x3fe2cf23
	;; [unrolled: 1-line block ×3, first 2 shown]
	s_waitcnt vmcnt(0)
	v_mul_f64 v[122:123], v[120:121], v[128:129]
	v_mul_f64 v[124:125], v[118:119], v[128:129]
	scratch_store_b128 off, v[126:129], off offset:472 ; 16-byte Folded Spill
	v_fma_f64 v[118:119], v[118:119], v[126:127], v[122:123]
	v_fma_f64 v[120:121], v[120:121], v[126:127], -v[124:125]
	ds_store_b128 v254, v[0:3]
	ds_store_b128 v254, v[4:7] offset:6144
	ds_store_b128 v254, v[8:11] offset:12288
	;; [unrolled: 1-line block ×29, first 2 shown]
	s_load_b128 s[4:7], s[6:7], 0x0
	s_waitcnt lgkmcnt(0)
	s_waitcnt_vscnt null, 0x0
	s_barrier
	buffer_gl0_inv
	ds_load_b128 v[5:8], v254 offset:12288
	ds_load_b128 v[1:4], v254
	ds_load_b128 v[9:12], v254 offset:24576
	s_waitcnt lgkmcnt(1)
	v_add_f64 v[13:14], v[1:2], v[5:6]
	s_waitcnt lgkmcnt(0)
	v_add_f64 v[45:46], v[5:6], -v[9:10]
	v_add_f64 v[195:196], v[9:10], -v[5:6]
	;; [unrolled: 1-line block ×4, first 2 shown]
	v_add_f64 v[25:26], v[13:14], v[9:10]
	v_add_f64 v[13:14], v[3:4], v[7:8]
	s_delay_alu instid0(VALU_DEP_1)
	v_add_f64 v[27:28], v[13:14], v[11:12]
	ds_load_b128 v[13:16], v254 offset:36864
	s_waitcnt lgkmcnt(0)
	v_add_f64 v[65:66], v[9:10], v[13:14]
	v_add_f64 v[17:18], v[11:12], -v[15:16]
	v_add_f64 v[67:68], v[11:12], v[15:16]
	v_add_f64 v[19:20], v[9:10], -v[13:14]
	ds_load_b128 v[9:12], v254 offset:49152
	s_waitcnt lgkmcnt(0)
	v_add_f64 v[21:22], v[7:8], -v[11:12]
	v_add_f64 v[69:70], v[5:6], v[9:10]
	v_add_f64 v[23:24], v[5:6], -v[9:10]
	v_add_f64 v[71:72], v[7:8], v[11:12]
	v_add_f64 v[5:6], v[25:26], v[13:14]
	;; [unrolled: 1-line block ×3, first 2 shown]
	v_add_f64 v[53:54], v[9:10], -v[13:14]
	v_add_f64 v[37:38], v[13:14], -v[9:10]
	v_add_f64 v[55:56], v[11:12], -v[15:16]
	v_add_f64 v[39:40], v[15:16], -v[11:12]
	v_add_f64 v[73:74], v[5:6], v[9:10]
	v_add_f64 v[75:76], v[7:8], v[11:12]
	ds_load_b128 v[5:8], v254 offset:6144
	ds_load_b128 v[9:12], v254 offset:18432
	;; [unrolled: 1-line block ×4, first 2 shown]
	v_add_f64 v[45:46], v[45:46], v[53:54]
	v_add_f64 v[47:48], v[47:48], v[55:56]
	;; [unrolled: 1-line block ×4, first 2 shown]
	s_waitcnt lgkmcnt(2)
	v_add_f64 v[25:26], v[5:6], v[9:10]
	s_waitcnt lgkmcnt(1)
	v_add_f64 v[57:58], v[9:10], -v[13:14]
	s_waitcnt lgkmcnt(0)
	v_add_f64 v[77:78], v[13:14], v[49:50]
	v_add_f64 v[41:42], v[13:14], -v[9:10]
	v_add_f64 v[79:80], v[15:16], v[51:52]
	v_add_f64 v[27:28], v[13:14], -v[49:50]
	v_add_f64 v[59:60], v[11:12], -v[15:16]
	;; [unrolled: 1-line block ×3, first 2 shown]
	v_add_f64 v[61:62], v[25:26], v[13:14]
	v_add_f64 v[25:26], v[7:8], v[11:12]
	s_delay_alu instid0(VALU_DEP_1)
	v_add_f64 v[63:64], v[25:26], v[15:16]
	v_add_f64 v[25:26], v[15:16], -v[51:52]
	ds_load_b128 v[13:16], v254 offset:55296
	s_waitcnt lgkmcnt(0)
	v_add_f64 v[31:32], v[11:12], -v[15:16]
	v_add_f64 v[33:34], v[9:10], v[13:14]
	v_add_f64 v[29:30], v[9:10], -v[13:14]
	v_add_f64 v[35:36], v[11:12], v[15:16]
	v_add_f64 v[9:10], v[61:62], v[49:50]
	v_add_f64 v[61:62], v[13:14], -v[49:50]
	v_add_f64 v[49:50], v[49:50], -v[13:14]
	v_add_f64 v[11:12], v[63:64], v[51:52]
	v_add_f64 v[63:64], v[15:16], -v[51:52]
	v_add_f64 v[51:52], v[51:52], -v[15:16]
	v_fma_f64 v[33:34], v[33:34], -0.5, v[5:6]
	v_fma_f64 v[35:36], v[35:36], -0.5, v[7:8]
	v_add_f64 v[85:86], v[9:10], v[13:14]
	v_add_f64 v[41:42], v[41:42], v[49:50]
	;; [unrolled: 1-line block ×3, first 2 shown]
	ds_load_b128 v[9:12], v254 offset:2048
	ds_load_b128 v[13:16], v254 offset:14336
	;; [unrolled: 1-line block ×5, first 2 shown]
	v_add_f64 v[43:44], v[43:44], v[51:52]
	s_waitcnt lgkmcnt(3)
	v_add_f64 v[89:90], v[9:10], v[13:14]
	s_waitcnt lgkmcnt(2)
	v_add_f64 v[109:110], v[13:14], -v[91:92]
	v_add_f64 v[97:98], v[91:92], -v[13:14]
	s_waitcnt lgkmcnt(1)
	v_add_f64 v[156:157], v[93:94], v[103:104]
	v_add_f64 v[111:112], v[15:16], -v[93:94]
	v_add_f64 v[99:100], v[93:94], -v[15:16]
	s_waitcnt lgkmcnt(0)
	v_add_f64 v[166:167], v[13:14], v[105:106]
	v_add_f64 v[95:96], v[13:14], -v[105:106]
	v_add_f64 v[168:169], v[15:16], v[107:108]
	v_add_f64 v[154:155], v[91:92], v[101:102]
	v_add_f64 v[122:123], v[105:106], -v[101:102]
	v_add_f64 v[124:125], v[107:108], -v[103:104]
	v_fma_f64 v[49:50], v[27:28], s[16:17], v[35:36]
	v_fma_f64 v[51:52], v[25:26], s[18:19], v[33:34]
	;; [unrolled: 1-line block ×4, first 2 shown]
	v_add_f64 v[114:115], v[89:90], v[91:92]
	v_add_f64 v[89:90], v[11:12], v[15:16]
	v_add_f64 v[91:92], v[91:92], -v[101:102]
	v_fma_f64 v[168:169], v[168:169], -0.5, v[11:12]
	v_fma_f64 v[49:50], v[29:30], s[14:15], v[49:50]
	v_fma_f64 v[51:52], v[31:32], s[8:9], v[51:52]
	v_fma_f64 v[33:34], v[31:32], s[14:15], v[33:34]
	v_fma_f64 v[35:36], v[29:30], s[8:9], v[35:36]
	v_add_f64 v[13:14], v[114:115], v[101:102]
	v_add_f64 v[116:117], v[89:90], v[93:94]
	v_add_f64 v[89:90], v[93:94], -v[103:104]
	v_add_f64 v[93:94], v[15:16], -v[107:108]
	;; [unrolled: 1-line block ×3, first 2 shown]
	v_fma_f64 v[49:50], v[43:44], s[12:13], v[49:50]
	v_fma_f64 v[51:52], v[41:42], s[12:13], v[51:52]
	;; [unrolled: 1-line block ×4, first 2 shown]
	v_add_f64 v[162:163], v[13:14], v[105:106]
	v_add_f64 v[15:16], v[116:117], v[103:104]
	v_add_f64 v[116:117], v[103:104], -v[107:108]
	s_delay_alu instid0(VALU_DEP_2)
	v_add_f64 v[164:165], v[15:16], v[107:108]
	ds_load_b128 v[126:129], v254 offset:20480
	ds_load_b128 v[13:16], v254 offset:8192
	;; [unrolled: 1-line block ×9, first 2 shown]
	s_waitcnt lgkmcnt(7)
	v_add_f64 v[101:102], v[13:14], v[126:127]
	s_waitcnt lgkmcnt(6)
	v_add_f64 v[130:131], v[126:127], -v[103:104]
	s_waitcnt lgkmcnt(5)
	v_add_f64 v[175:176], v[103:104], v[136:137]
	v_add_f64 v[118:119], v[103:104], -v[126:127]
	v_add_f64 v[177:178], v[105:106], v[138:139]
	v_add_f64 v[132:133], v[128:129], -v[105:106]
	v_add_f64 v[120:121], v[105:106], -v[128:129]
	s_waitcnt lgkmcnt(4)
	v_add_f64 v[107:108], v[128:129], -v[142:143]
	v_add_f64 v[183:184], v[126:127], v[140:141]
	v_add_f64 v[185:186], v[128:129], v[142:143]
	s_waitcnt lgkmcnt(0)
	v_add_f64 v[226:227], v[158:159], v[206:207]
	v_add_f64 v[228:229], v[160:161], v[208:209]
	;; [unrolled: 1-line block ×4, first 2 shown]
	v_add_f64 v[103:104], v[103:104], -v[136:137]
	v_add_f64 v[128:129], v[138:139], -v[142:143]
	v_fma_f64 v[175:176], v[175:176], -0.5, v[13:14]
	v_fma_f64 v[177:178], v[177:178], -0.5, v[15:16]
	;; [unrolled: 1-line block ×4, first 2 shown]
	v_add_f64 v[146:147], v[134:135], v[136:137]
	v_add_f64 v[144:145], v[101:102], v[105:106]
	v_add_f64 v[101:102], v[105:106], -v[138:139]
	v_add_f64 v[105:106], v[126:127], -v[140:141]
	v_add_f64 v[134:135], v[140:141], -v[136:137]
	v_add_f64 v[126:127], v[136:137], -v[140:141]
	v_add_f64 v[136:137], v[142:143], -v[138:139]
	v_add_f64 v[179:180], v[146:147], v[140:141]
	v_add_f64 v[144:145], v[144:145], v[138:139]
	;; [unrolled: 1-line block ×5, first 2 shown]
	s_delay_alu instid0(VALU_DEP_4)
	v_add_f64 v[181:182], v[144:145], v[142:143]
	ds_load_b128 v[140:143], v254 offset:28672
	v_add_f64 v[144:145], v[158:159], -v[206:207]
	s_waitcnt lgkmcnt(0)
	v_add_f64 v[170:171], v[138:139], v[140:141]
	v_add_f64 v[138:139], v[204:205], v[160:161]
	v_add_f64 v[150:151], v[158:159], -v[140:141]
	v_add_f64 v[146:147], v[140:141], -v[158:159]
	v_add_f64 v[224:225], v[142:143], v[189:190]
	v_add_f64 v[152:153], v[160:161], -v[142:143]
	v_add_f64 v[148:149], v[142:143], -v[160:161]
	;; [unrolled: 1-line block ×3, first 2 shown]
	v_add_f64 v[222:223], v[140:141], v[187:188]
	v_add_f64 v[140:141], v[140:141], -v[187:188]
	v_add_f64 v[210:211], v[170:171], v[187:188]
	v_add_f64 v[173:174], v[138:139], v[142:143]
	v_add_f64 v[138:139], v[142:143], -v[189:190]
	v_add_f64 v[142:143], v[160:161], -v[208:209]
	;; [unrolled: 1-line block ×4, first 2 shown]
	v_fma_f64 v[224:225], v[224:225], -0.5, v[204:205]
	v_fma_f64 v[204:205], v[228:229], -0.5, v[204:205]
	;; [unrolled: 1-line block ×4, first 2 shown]
	v_add_f64 v[230:231], v[210:211], v[206:207]
	v_add_f64 v[212:213], v[173:174], v[189:190]
	v_add_f64 v[173:174], v[208:209], -v[189:190]
	s_delay_alu instid0(VALU_DEP_2)
	v_add_f64 v[232:233], v[212:213], v[208:209]
	ds_load_b128 v[206:209], v254 offset:10240
	ds_load_b128 v[210:213], v254 offset:22528
	;; [unrolled: 1-line block ×4, first 2 shown]
	s_waitcnt lgkmcnt(2)
	v_add_f64 v[187:188], v[206:207], v[210:211]
	s_waitcnt lgkmcnt(1)
	v_add_f64 v[240:241], v[210:211], -v[214:215]
	s_waitcnt lgkmcnt(0)
	v_add_f64 v[238:239], v[214:215], v[218:219]
	v_add_f64 v[242:243], v[214:215], -v[210:211]
	v_add_f64 v[244:245], v[216:217], v[220:221]
	v_add_f64 v[189:190], v[214:215], -v[218:219]
	v_add_f64 v[246:247], v[212:213], -v[216:217]
	;; [unrolled: 1-line block ×3, first 2 shown]
	v_add_f64 v[234:235], v[187:188], v[214:215]
	v_add_f64 v[187:188], v[208:209], v[212:213]
	v_fma_f64 v[226:227], v[238:239], -0.5, v[206:207]
	s_delay_alu instid0(VALU_DEP_3) | instskip(NEXT) | instid1(VALU_DEP_3)
	v_add_f64 v[234:235], v[234:235], v[218:219]
	v_add_f64 v[236:237], v[187:188], v[216:217]
	v_add_f64 v[187:188], v[216:217], -v[220:221]
	ds_load_b128 v[214:217], v254 offset:59392
	s_waitcnt lgkmcnt(0)
	s_barrier
	buffer_gl0_inv
	v_add_f64 v[250:251], v[212:213], -v[216:217]
	v_add_f64 v[191:192], v[210:211], v[214:215]
	v_add_f64 v[210:211], v[210:211], -v[214:215]
	v_add_f64 v[212:213], v[212:213], v[216:217]
	v_add_f64 v[83:84], v[214:215], -v[218:219]
	v_add_f64 v[218:219], v[218:219], -v[214:215]
	v_add_f64 v[81:82], v[216:217], -v[220:221]
	v_add_f64 v[214:215], v[234:235], v[214:215]
	v_add_f64 v[236:237], v[236:237], v[220:221]
	v_add_f64 v[220:221], v[220:221], -v[216:217]
	v_fma_f64 v[234:235], v[65:66], -0.5, v[1:2]
	v_add_f64 v[65:66], v[73:74], v[85:86]
	v_fma_f64 v[191:192], v[191:192], -0.5, v[206:207]
	v_fma_f64 v[206:207], v[244:245], -0.5, v[208:209]
	;; [unrolled: 1-line block ×3, first 2 shown]
	v_add_f64 v[13:14], v[230:231], -v[214:215]
	v_add_f64 v[216:217], v[236:237], v[216:217]
	v_fma_f64 v[236:237], v[69:70], -0.5, v[1:2]
	v_add_f64 v[69:70], v[73:74], -v[85:86]
	v_fma_f64 v[73:74], v[77:78], -0.5, v[5:6]
	v_fma_f64 v[0:1], v[67:68], -0.5, v[3:4]
	;; [unrolled: 1-line block ×3, first 2 shown]
	v_add_f64 v[67:68], v[75:76], v[87:88]
	v_add_f64 v[71:72], v[75:76], -v[87:88]
	v_fma_f64 v[75:76], v[79:80], -0.5, v[7:8]
	v_add_f64 v[77:78], v[57:58], v[61:62]
	v_add_f64 v[79:80], v[59:60], v[63:64]
	v_mul_u32_u24_e32 v4, 10, v253
	v_fma_f64 v[85:86], v[154:155], -0.5, v[9:10]
	v_fma_f64 v[87:88], v[166:167], -0.5, v[9:10]
	;; [unrolled: 1-line block ×3, first 2 shown]
	v_add_f64 v[9:10], v[162:163], v[179:180]
	v_lshlrev_b32_e32 v4, 4, v4
	ds_store_b128 v4, v[65:68]
	ds_store_b128 v4, v[69:72] offset:80
	v_fma_f64 v[53:54], v[31:32], s[16:17], v[73:74]
	v_fma_f64 v[55:56], v[29:30], s[18:19], v[75:76]
	v_add_f64 v[11:12], v[164:165], v[181:182]
	v_add_f64 v[154:155], v[230:231], v[214:215]
	v_add_f64 v[156:157], v[232:233], v[216:217]
	v_add_f64 v[5:6], v[162:163], -v[179:180]
	v_add_f64 v[7:8], v[164:165], -v[181:182]
	;; [unrolled: 1-line block ×3, first 2 shown]
	scratch_store_b32 off, v4, off offset:540 ; 4-byte Folded Spill
	v_or_b32_e32 v182, 0x480, v253
	v_or_b32_e32 v181, 0x600, v253
	v_fma_f64 v[53:54], v[25:26], s[8:9], v[53:54]
	v_fma_f64 v[55:56], v[27:28], s[14:15], v[55:56]
	s_delay_alu instid0(VALU_DEP_2) | instskip(NEXT) | instid1(VALU_DEP_2)
	v_fma_f64 v[53:54], v[77:78], s[12:13], v[53:54]
	v_fma_f64 v[55:56], v[79:80], s[12:13], v[55:56]
	s_delay_alu instid0(VALU_DEP_2) | instskip(SKIP_1) | instid1(VALU_DEP_2)
	v_mul_f64 v[57:58], v[53:54], s[20:21]
	v_mul_f64 v[53:54], v[53:54], s[14:15]
	v_fma_f64 v[57:58], v[55:56], s[8:9], v[57:58]
	s_delay_alu instid0(VALU_DEP_2) | instskip(SKIP_3) | instid1(VALU_DEP_3)
	v_fma_f64 v[59:60], v[55:56], s[20:21], v[53:54]
	v_fma_f64 v[53:54], v[21:22], s[16:17], v[234:235]
	;; [unrolled: 1-line block ×5, first 2 shown]
	s_delay_alu instid0(VALU_DEP_3) | instskip(NEXT) | instid1(VALU_DEP_3)
	v_fma_f64 v[55:56], v[19:20], s[14:15], v[55:56]
	v_fma_f64 v[0:1], v[19:20], s[8:9], v[0:1]
	s_delay_alu instid0(VALU_DEP_3) | instskip(NEXT) | instid1(VALU_DEP_3)
	v_fma_f64 v[61:62], v[45:46], s[12:13], v[53:54]
	v_fma_f64 v[63:64], v[47:48], s[12:13], v[55:56]
	s_delay_alu instid0(VALU_DEP_3) | instskip(NEXT) | instid1(VALU_DEP_3)
	v_fma_f64 v[0:1], v[47:48], s[12:13], v[0:1]
	v_add_f64 v[53:54], v[61:62], v[57:58]
	v_add_f64 v[57:58], v[61:62], -v[57:58]
	v_mul_f64 v[61:62], v[49:50], s[16:17]
	v_add_f64 v[55:56], v[63:64], v[59:60]
	v_add_f64 v[59:60], v[63:64], -v[59:60]
	s_delay_alu instid0(VALU_DEP_3) | instskip(SKIP_1) | instid1(VALU_DEP_1)
	v_fma_f64 v[61:62], v[51:52], s[12:13], v[61:62]
	v_mul_f64 v[51:52], v[51:52], s[18:19]
	v_fma_f64 v[63:64], v[49:50], s[12:13], v[51:52]
	v_fma_f64 v[51:52], v[19:20], s[16:17], v[2:3]
	v_fma_f64 v[2:3], v[19:20], s[18:19], v[2:3]
	v_fma_f64 v[49:50], v[17:18], s[18:19], v[236:237]
	s_delay_alu instid0(VALU_DEP_3) | instskip(NEXT) | instid1(VALU_DEP_3)
	v_fma_f64 v[51:52], v[23:24], s[14:15], v[51:52]
	v_fma_f64 v[2:3], v[23:24], s[8:9], v[2:3]
	s_delay_alu instid0(VALU_DEP_3) | instskip(SKIP_1) | instid1(VALU_DEP_4)
	v_fma_f64 v[49:50], v[21:22], s[8:9], v[49:50]
	v_fma_f64 v[23:24], v[29:30], s[16:17], v[75:76]
	;; [unrolled: 1-line block ×3, first 2 shown]
	s_delay_alu instid0(VALU_DEP_4)
	v_fma_f64 v[2:3], v[39:40], s[12:13], v[2:3]
	v_mul_f64 v[39:40], v[33:34], s[22:23]
	v_fma_f64 v[65:66], v[37:38], s[12:13], v[49:50]
	v_fma_f64 v[19:20], v[27:28], s[8:9], v[23:24]
	v_add_f64 v[51:52], v[67:68], v[63:64]
	v_add_f64 v[63:64], v[67:68], -v[63:64]
	v_fma_f64 v[39:40], v[35:36], s[16:17], v[39:40]
	v_mul_f64 v[35:36], v[35:36], s[22:23]
	v_add_f64 v[49:50], v[65:66], v[61:62]
	v_add_f64 v[61:62], v[65:66], -v[61:62]
	v_fma_f64 v[65:66], v[17:18], s[16:17], v[236:237]
	v_fma_f64 v[19:20], v[79:80], s[12:13], v[19:20]
	;; [unrolled: 1-line block ×3, first 2 shown]
	v_add_f64 v[35:36], v[99:100], v[116:117]
	v_add_f64 v[99:100], v[148:149], v[160:161]
	v_fma_f64 v[65:66], v[21:22], s[14:15], v[65:66]
	v_fma_f64 v[21:22], v[21:22], s[18:19], v[234:235]
	;; [unrolled: 1-line block ×3, first 2 shown]
	v_add_f64 v[67:68], v[2:3], v[33:34]
	v_add_f64 v[71:72], v[2:3], -v[33:34]
	v_fma_f64 v[2:3], v[31:32], s[18:19], v[73:74]
	v_fma_f64 v[37:38], v[37:38], s[12:13], v[65:66]
	;; [unrolled: 1-line block ×3, first 2 shown]
	v_add_f64 v[33:34], v[97:98], v[114:115]
	v_add_f64 v[97:98], v[146:147], v[158:159]
	v_fma_f64 v[116:117], v[189:190], s[8:9], v[116:117]
	v_fma_f64 v[114:115], v[144:145], s[16:17], v[224:225]
	;; [unrolled: 1-line block ×3, first 2 shown]
	v_add_f64 v[65:66], v[37:38], v[39:40]
	v_fma_f64 v[17:18], v[45:46], s[12:13], v[17:18]
	v_add_f64 v[69:70], v[37:38], -v[39:40]
	v_add_f64 v[39:40], v[120:121], v[128:129]
	v_add_f64 v[37:38], v[118:119], v[126:127]
	v_fma_f64 v[114:115], v[140:141], s[8:9], v[114:115]
	v_fma_f64 v[2:3], v[77:78], s[12:13], v[2:3]
	s_delay_alu instid0(VALU_DEP_1) | instskip(NEXT) | instid1(VALU_DEP_1)
	v_mul_f64 v[21:22], v[2:3], s[24:25]
	v_fma_f64 v[21:22], v[19:20], s[8:9], v[21:22]
	v_mul_f64 v[19:20], v[19:20], s[24:25]
	s_delay_alu instid0(VALU_DEP_2) | instskip(SKIP_2) | instid1(VALU_DEP_4)
	v_add_f64 v[73:74], v[17:18], v[21:22]
	v_add_f64 v[77:78], v[17:18], -v[21:22]
	v_fma_f64 v[17:18], v[107:108], s[16:17], v[175:176]
	v_fma_f64 v[2:3], v[2:3], s[14:15], v[19:20]
	;; [unrolled: 1-line block ×3, first 2 shown]
	s_delay_alu instid0(VALU_DEP_3) | instskip(NEXT) | instid1(VALU_DEP_3)
	v_fma_f64 v[17:18], v[101:102], s[8:9], v[17:18]
	v_add_f64 v[75:76], v[0:1], v[2:3]
	s_delay_alu instid0(VALU_DEP_3)
	v_fma_f64 v[19:20], v[103:104], s[14:15], v[19:20]
	v_add_f64 v[79:80], v[0:1], -v[2:3]
	v_add_f64 v[0:1], v[109:110], v[122:123]
	v_add_f64 v[2:3], v[111:112], v[124:125]
	ds_store_b128 v4, v[53:56] offset:16
	ds_store_b128 v4, v[49:52] offset:32
	;; [unrolled: 1-line block ×8, first 2 shown]
	v_fma_f64 v[17:18], v[41:42], s[12:13], v[17:18]
	v_fma_f64 v[19:20], v[43:44], s[12:13], v[19:20]
	s_delay_alu instid0(VALU_DEP_2) | instskip(SKIP_1) | instid1(VALU_DEP_2)
	v_mul_f64 v[21:22], v[17:18], s[20:21]
	v_mul_f64 v[17:18], v[17:18], s[14:15]
	v_fma_f64 v[25:26], v[19:20], s[8:9], v[21:22]
	s_delay_alu instid0(VALU_DEP_2) | instskip(SKIP_2) | instid1(VALU_DEP_2)
	v_fma_f64 v[19:20], v[19:20], s[20:21], v[17:18]
	v_fma_f64 v[17:18], v[93:94], s[16:17], v[85:86]
	;; [unrolled: 1-line block ×4, first 2 shown]
	s_delay_alu instid0(VALU_DEP_2) | instskip(NEXT) | instid1(VALU_DEP_2)
	v_fma_f64 v[21:22], v[91:92], s[14:15], v[21:22]
	v_fma_f64 v[17:18], v[0:1], s[12:13], v[17:18]
	s_delay_alu instid0(VALU_DEP_2) | instskip(NEXT) | instid1(VALU_DEP_2)
	v_fma_f64 v[27:28], v[2:3], s[12:13], v[21:22]
	v_add_f64 v[21:22], v[17:18], v[25:26]
	v_add_f64 v[17:18], v[17:18], -v[25:26]
	v_fma_f64 v[25:26], v[103:104], s[16:17], v[185:186]
	s_delay_alu instid0(VALU_DEP_4) | instskip(SKIP_2) | instid1(VALU_DEP_4)
	v_add_f64 v[23:24], v[27:28], v[19:20]
	v_add_f64 v[19:20], v[27:28], -v[19:20]
	v_fma_f64 v[27:28], v[101:102], s[18:19], v[183:184]
	v_fma_f64 v[25:26], v[105:106], s[14:15], v[25:26]
	s_delay_alu instid0(VALU_DEP_2) | instskip(NEXT) | instid1(VALU_DEP_2)
	v_fma_f64 v[27:28], v[107:108], s[8:9], v[27:28]
	v_fma_f64 v[25:26], v[39:40], s[12:13], v[25:26]
	s_delay_alu instid0(VALU_DEP_2) | instskip(NEXT) | instid1(VALU_DEP_2)
	v_fma_f64 v[27:28], v[37:38], s[12:13], v[27:28]
	v_mul_f64 v[29:30], v[25:26], s[16:17]
	s_delay_alu instid0(VALU_DEP_1) | instskip(SKIP_2) | instid1(VALU_DEP_2)
	v_fma_f64 v[45:46], v[27:28], s[12:13], v[29:30]
	v_mul_f64 v[27:28], v[27:28], s[18:19]
	v_fma_f64 v[29:30], v[91:92], s[16:17], v[168:169]
	v_fma_f64 v[27:28], v[25:26], s[12:13], v[27:28]
	;; [unrolled: 1-line block ×3, first 2 shown]
	s_delay_alu instid0(VALU_DEP_3) | instskip(NEXT) | instid1(VALU_DEP_2)
	v_fma_f64 v[29:30], v[95:96], s[14:15], v[29:30]
	v_fma_f64 v[25:26], v[93:94], s[8:9], v[25:26]
	s_delay_alu instid0(VALU_DEP_2) | instskip(NEXT) | instid1(VALU_DEP_2)
	v_fma_f64 v[47:48], v[35:36], s[12:13], v[29:30]
	v_fma_f64 v[25:26], v[33:34], s[12:13], v[25:26]
	s_delay_alu instid0(VALU_DEP_2) | instskip(SKIP_1) | instid1(VALU_DEP_3)
	v_add_f64 v[31:32], v[47:48], v[27:28]
	v_add_f64 v[27:28], v[47:48], -v[27:28]
	v_add_f64 v[29:30], v[25:26], v[45:46]
	v_add_f64 v[25:26], v[25:26], -v[45:46]
	v_fma_f64 v[45:46], v[89:90], s[16:17], v[87:88]
	v_fma_f64 v[87:88], v[105:106], s[16:17], v[177:178]
	s_delay_alu instid0(VALU_DEP_2) | instskip(NEXT) | instid1(VALU_DEP_2)
	v_fma_f64 v[45:46], v[93:94], s[14:15], v[45:46]
	v_fma_f64 v[87:88], v[103:104], s[8:9], v[87:88]
	s_delay_alu instid0(VALU_DEP_2) | instskip(SKIP_1) | instid1(VALU_DEP_3)
	v_fma_f64 v[33:34], v[33:34], s[12:13], v[45:46]
	v_fma_f64 v[45:46], v[91:92], s[18:19], v[168:169]
	;; [unrolled: 1-line block ×3, first 2 shown]
	s_delay_alu instid0(VALU_DEP_2) | instskip(NEXT) | instid1(VALU_DEP_1)
	v_fma_f64 v[45:46], v[95:96], s[8:9], v[45:46]
	v_fma_f64 v[35:36], v[35:36], s[12:13], v[45:46]
	;; [unrolled: 1-line block ×3, first 2 shown]
	v_or_b32_e32 v183, 0x500, v253
	v_or_b32_e32 v184, 0x680, v253
	s_delay_alu instid0(VALU_DEP_3) | instskip(NEXT) | instid1(VALU_DEP_1)
	v_fma_f64 v[45:46], v[107:108], s[14:15], v[45:46]
	v_fma_f64 v[37:38], v[37:38], s[12:13], v[45:46]
	;; [unrolled: 1-line block ×3, first 2 shown]
	v_add_f64 v[103:104], v[248:249], v[220:221]
	v_or_b32_e32 v185, 0x300, v253
	s_delay_alu instid0(VALU_DEP_3) | instskip(SKIP_2) | instid1(VALU_DEP_3)
	v_fma_f64 v[45:46], v[105:106], s[8:9], v[45:46]
	v_add_f64 v[105:106], v[240:241], v[83:84]
	v_fma_f64 v[83:84], v[210:211], s[18:19], v[206:207]
	v_fma_f64 v[39:40], v[39:40], s[12:13], v[45:46]
	v_mul_f64 v[45:46], v[37:38], s[22:23]
	s_delay_alu instid0(VALU_DEP_3) | instskip(NEXT) | instid1(VALU_DEP_2)
	v_fma_f64 v[83:84], v[189:190], s[14:15], v[83:84]
	v_fma_f64 v[45:46], v[39:40], s[16:17], v[45:46]
	v_mul_f64 v[39:40], v[39:40], s[22:23]
	s_delay_alu instid0(VALU_DEP_1) | instskip(NEXT) | instid1(VALU_DEP_3)
	v_fma_f64 v[47:48], v[37:38], s[18:19], v[39:40]
	v_add_f64 v[37:38], v[33:34], v[45:46]
	v_add_f64 v[33:34], v[33:34], -v[45:46]
	v_fma_f64 v[45:46], v[107:108], s[18:19], v[175:176]
	v_add_f64 v[107:108], v[246:247], v[81:82]
	v_fma_f64 v[81:82], v[250:251], s[16:17], v[226:227]
	v_add_f64 v[39:40], v[35:36], v[47:48]
	v_add_f64 v[35:36], v[35:36], -v[47:48]
	v_fma_f64 v[47:48], v[93:94], s[18:19], v[85:86]
	v_fma_f64 v[45:46], v[101:102], s[14:15], v[45:46]
	;; [unrolled: 1-line block ×5, first 2 shown]
	v_add_f64 v[101:102], v[242:243], v[218:219]
	v_fma_f64 v[107:108], v[107:108], s[12:13], v[116:117]
	v_fma_f64 v[47:48], v[89:90], s[14:15], v[47:48]
	;; [unrolled: 1-line block ×5, first 2 shown]
	s_delay_alu instid0(VALU_DEP_4) | instskip(NEXT) | instid1(VALU_DEP_4)
	v_fma_f64 v[0:1], v[0:1], s[12:13], v[47:48]
	v_mul_f64 v[45:46], v[41:42], s[24:25]
	s_delay_alu instid0(VALU_DEP_4) | instskip(NEXT) | instid1(VALU_DEP_2)
	v_fma_f64 v[2:3], v[2:3], s[12:13], v[85:86]
	v_fma_f64 v[85:86], v[43:44], s[8:9], v[45:46]
	v_mul_f64 v[43:44], v[43:44], s[24:25]
	s_delay_alu instid0(VALU_DEP_2) | instskip(NEXT) | instid1(VALU_DEP_2)
	v_add_f64 v[45:46], v[0:1], v[85:86]
	v_fma_f64 v[43:44], v[41:42], s[14:15], v[43:44]
	v_add_f64 v[41:42], v[0:1], -v[85:86]
	v_mul_f64 v[85:86], v[81:82], s[20:21]
	v_mul_f64 v[81:82], v[81:82], s[14:15]
	v_add_f64 v[0:1], v[150:151], v[170:171]
	v_add_f64 v[47:48], v[2:3], v[43:44]
	v_add_f64 v[43:44], v[2:3], -v[43:44]
	v_fma_f64 v[85:86], v[83:84], s[8:9], v[85:86]
	v_fma_f64 v[87:88], v[83:84], s[20:21], v[81:82]
	;; [unrolled: 1-line block ×4, first 2 shown]
	v_add_f64 v[2:3], v[152:153], v[173:174]
	s_delay_alu instid0(VALU_DEP_3) | instskip(NEXT) | instid1(VALU_DEP_3)
	v_fma_f64 v[81:82], v[138:139], s[8:9], v[81:82]
	v_fma_f64 v[83:84], v[140:141], s[14:15], v[83:84]
	s_delay_alu instid0(VALU_DEP_2) | instskip(NEXT) | instid1(VALU_DEP_2)
	v_fma_f64 v[89:90], v[0:1], s[12:13], v[81:82]
	v_fma_f64 v[91:92], v[2:3], s[12:13], v[83:84]
	;; [unrolled: 1-line block ×3, first 2 shown]
	v_or_b32_e32 v115, 0x80, v253
	s_delay_alu instid0(VALU_DEP_4)
	v_add_f64 v[81:82], v[89:90], v[85:86]
	v_add_f64 v[85:86], v[89:90], -v[85:86]
	v_fma_f64 v[89:90], v[189:190], s[16:17], v[208:209]
	v_add_f64 v[83:84], v[91:92], v[87:88]
	v_add_f64 v[87:88], v[91:92], -v[87:88]
	v_fma_f64 v[91:92], v[187:188], s[18:19], v[191:192]
	s_delay_alu instid0(VALU_DEP_4) | instskip(NEXT) | instid1(VALU_DEP_2)
	v_fma_f64 v[89:90], v[210:211], s[14:15], v[89:90]
	v_fma_f64 v[91:92], v[250:251], s[8:9], v[91:92]
	s_delay_alu instid0(VALU_DEP_2) | instskip(NEXT) | instid1(VALU_DEP_2)
	v_fma_f64 v[89:90], v[103:104], s[12:13], v[89:90]
	v_fma_f64 v[91:92], v[101:102], s[12:13], v[91:92]
	s_delay_alu instid0(VALU_DEP_2) | instskip(NEXT) | instid1(VALU_DEP_1)
	v_mul_f64 v[93:94], v[89:90], s[16:17]
	v_fma_f64 v[93:94], v[91:92], s[12:13], v[93:94]
	v_mul_f64 v[91:92], v[91:92], s[18:19]
	s_delay_alu instid0(VALU_DEP_1) | instskip(SKIP_2) | instid1(VALU_DEP_2)
	v_fma_f64 v[95:96], v[89:90], s[12:13], v[91:92]
	v_fma_f64 v[89:90], v[138:139], s[18:19], v[202:203]
	v_fma_f64 v[91:92], v[140:141], s[16:17], v[204:205]
	v_fma_f64 v[89:90], v[142:143], s[8:9], v[89:90]
	s_delay_alu instid0(VALU_DEP_2) | instskip(NEXT) | instid1(VALU_DEP_2)
	v_fma_f64 v[91:92], v[144:145], s[14:15], v[91:92]
	v_fma_f64 v[109:110], v[97:98], s[12:13], v[89:90]
	s_delay_alu instid0(VALU_DEP_2) | instskip(NEXT) | instid1(VALU_DEP_2)
	v_fma_f64 v[111:112], v[99:100], s[12:13], v[91:92]
	v_add_f64 v[89:90], v[109:110], v[93:94]
	v_add_f64 v[93:94], v[109:110], -v[93:94]
	v_fma_f64 v[109:110], v[138:139], s[16:17], v[202:203]
	s_delay_alu instid0(VALU_DEP_4) | instskip(SKIP_1) | instid1(VALU_DEP_3)
	v_add_f64 v[91:92], v[111:112], v[95:96]
	v_add_f64 v[95:96], v[111:112], -v[95:96]
	v_fma_f64 v[109:110], v[142:143], s[14:15], v[109:110]
	s_delay_alu instid0(VALU_DEP_1) | instskip(SKIP_1) | instid1(VALU_DEP_1)
	v_fma_f64 v[109:110], v[97:98], s[12:13], v[109:110]
	v_fma_f64 v[97:98], v[140:141], s[18:19], v[204:205]
	;; [unrolled: 1-line block ×3, first 2 shown]
	s_delay_alu instid0(VALU_DEP_1) | instskip(SKIP_2) | instid1(VALU_DEP_2)
	v_fma_f64 v[111:112], v[99:100], s[12:13], v[97:98]
	v_fma_f64 v[97:98], v[187:188], s[16:17], v[191:192]
	;; [unrolled: 1-line block ×4, first 2 shown]
	s_delay_alu instid0(VALU_DEP_2) | instskip(NEXT) | instid1(VALU_DEP_2)
	v_fma_f64 v[99:100], v[210:211], s[8:9], v[99:100]
	v_fma_f64 v[97:98], v[101:102], s[12:13], v[97:98]
	s_delay_alu instid0(VALU_DEP_2) | instskip(NEXT) | instid1(VALU_DEP_2)
	v_fma_f64 v[99:100], v[103:104], s[12:13], v[99:100]
	v_mul_f64 v[101:102], v[97:98], s[22:23]
	s_delay_alu instid0(VALU_DEP_1) | instskip(SKIP_1) | instid1(VALU_DEP_1)
	v_fma_f64 v[101:102], v[99:100], s[16:17], v[101:102]
	v_mul_f64 v[99:100], v[99:100], s[22:23]
	v_fma_f64 v[103:104], v[97:98], s[18:19], v[99:100]
	s_delay_alu instid0(VALU_DEP_3) | instskip(SKIP_2) | instid1(VALU_DEP_4)
	v_add_f64 v[97:98], v[109:110], v[101:102]
	v_add_f64 v[101:102], v[109:110], -v[101:102]
	v_fma_f64 v[109:110], v[250:251], s[18:19], v[226:227]
	v_add_f64 v[99:100], v[111:112], v[103:104]
	v_add_f64 v[103:104], v[111:112], -v[103:104]
	v_fma_f64 v[111:112], v[142:143], s[18:19], v[222:223]
	s_delay_alu instid0(VALU_DEP_4) | instskip(NEXT) | instid1(VALU_DEP_2)
	v_fma_f64 v[109:110], v[187:188], s[14:15], v[109:110]
	v_fma_f64 v[111:112], v[138:139], s[14:15], v[111:112]
	s_delay_alu instid0(VALU_DEP_2) | instskip(NEXT) | instid1(VALU_DEP_2)
	v_fma_f64 v[105:106], v[105:106], s[12:13], v[109:110]
	v_fma_f64 v[0:1], v[0:1], s[12:13], v[111:112]
	s_delay_alu instid0(VALU_DEP_2) | instskip(NEXT) | instid1(VALU_DEP_1)
	v_mul_f64 v[109:110], v[105:106], s[24:25]
	v_fma_f64 v[109:110], v[107:108], s[8:9], v[109:110]
	v_mul_f64 v[107:108], v[107:108], s[24:25]
	s_delay_alu instid0(VALU_DEP_1) | instskip(NEXT) | instid1(VALU_DEP_3)
	v_fma_f64 v[111:112], v[105:106], s[14:15], v[107:108]
	v_add_f64 v[105:106], v[0:1], v[109:110]
	v_add_f64 v[109:110], v[0:1], -v[109:110]
	v_mul_u32_u24_e32 v0, 10, v115
	s_delay_alu instid0(VALU_DEP_1)
	v_lshlrev_b32_e32 v248, 4, v0
	v_mul_u32_u24_e32 v0, 10, v201
	ds_store_b128 v248, v[9:12]
	ds_store_b128 v248, v[21:24] offset:16
	ds_store_b128 v248, v[29:32] offset:32
	;; [unrolled: 1-line block ×9, first 2 shown]
	v_lshlrev_b32_e32 v255, 4, v0
	v_mul_lo_u16 v0, 0x67, v253
	v_add_f64 v[107:108], v[2:3], v[111:112]
	v_add_f64 v[111:112], v[2:3], -v[111:112]
	ds_store_b128 v255, v[154:157]
	ds_store_b128 v255, v[81:84] offset:16
	ds_store_b128 v255, v[89:92] offset:32
	;; [unrolled: 1-line block ×9, first 2 shown]
	v_lshrrev_b16 v157, 10, v0
	s_waitcnt lgkmcnt(0)
	s_waitcnt_vscnt null, 0x0
	s_barrier
	buffer_gl0_inv
	v_mul_lo_u16 v0, v157, 10
	v_and_b32_e32 v157, 0xffff, v157
	s_delay_alu instid0(VALU_DEP_2) | instskip(NEXT) | instid1(VALU_DEP_2)
	v_sub_nc_u16 v0, v253, v0
	v_mul_u32_u24_e32 v157, 60, v157
	s_delay_alu instid0(VALU_DEP_2)
	v_and_b32_e32 v159, 0xff, v0
	ds_load_b128 v[0:3], v254 offset:10240
	v_mad_u64_u32 v[4:5], null, 0x50, v159, s[10:11]
	v_add_lshl_u32 v157, v157, v159, 4
	global_load_b128 v[8:11], v[4:5], off
	s_waitcnt vmcnt(0) lgkmcnt(0)
	v_mul_f64 v[6:7], v[2:3], v[10:11]
	scratch_store_b128 off, v[8:11], off offset:544 ; 16-byte Folded Spill
	v_fma_f64 v[33:34], v[0:1], v[8:9], -v[6:7]
	v_mul_f64 v[0:1], v[0:1], v[10:11]
	s_delay_alu instid0(VALU_DEP_1)
	v_fma_f64 v[35:36], v[2:3], v[8:9], v[0:1]
	global_load_b128 v[8:11], v[4:5], off offset:16
	ds_load_b128 v[0:3], v254 offset:20480
	s_waitcnt vmcnt(0) lgkmcnt(0)
	v_mul_f64 v[6:7], v[2:3], v[10:11]
	scratch_store_b128 off, v[8:11], off offset:560 ; 16-byte Folded Spill
	v_fma_f64 v[37:38], v[0:1], v[8:9], -v[6:7]
	v_mul_f64 v[0:1], v[0:1], v[10:11]
	s_delay_alu instid0(VALU_DEP_1)
	v_fma_f64 v[39:40], v[2:3], v[8:9], v[0:1]
	global_load_b128 v[8:11], v[4:5], off offset:32
	ds_load_b128 v[0:3], v254 offset:30720
	s_waitcnt vmcnt(0)
	scratch_store_b128 off, v[8:11], off offset:576 ; 16-byte Folded Spill
	s_waitcnt lgkmcnt(0)
	v_mul_f64 v[6:7], v[2:3], v[10:11]
	s_delay_alu instid0(VALU_DEP_1) | instskip(SKIP_1) | instid1(VALU_DEP_1)
	v_fma_f64 v[45:46], v[0:1], v[8:9], -v[6:7]
	v_mul_f64 v[0:1], v[0:1], v[10:11]
	v_fma_f64 v[41:42], v[2:3], v[8:9], v[0:1]
	global_load_b128 v[8:11], v[4:5], off offset:48
	ds_load_b128 v[0:3], v254 offset:40960
	s_waitcnt vmcnt(0) lgkmcnt(0)
	v_mul_f64 v[6:7], v[2:3], v[10:11]
	scratch_store_b128 off, v[8:11], off offset:592 ; 16-byte Folded Spill
	v_fma_f64 v[53:54], v[0:1], v[8:9], -v[6:7]
	v_mul_f64 v[0:1], v[0:1], v[10:11]
	s_delay_alu instid0(VALU_DEP_1)
	v_fma_f64 v[61:62], v[2:3], v[8:9], v[0:1]
	global_load_b128 v[6:9], v[4:5], off offset:64
	ds_load_b128 v[0:3], v254 offset:51200
	s_waitcnt vmcnt(0)
	scratch_store_b128 off, v[6:9], off offset:608 ; 16-byte Folded Spill
	s_waitcnt lgkmcnt(0)
	v_mul_f64 v[4:5], v[2:3], v[8:9]
	s_delay_alu instid0(VALU_DEP_1) | instskip(SKIP_1) | instid1(VALU_DEP_1)
	v_fma_f64 v[99:100], v[0:1], v[6:7], -v[4:5]
	v_mul_f64 v[0:1], v[0:1], v[8:9]
	v_fma_f64 v[89:90], v[2:3], v[6:7], v[0:1]
	v_mul_lo_u16 v0, 0xcd, v115
	s_delay_alu instid0(VALU_DEP_1) | instskip(NEXT) | instid1(VALU_DEP_1)
	v_lshrrev_b16 v0, 11, v0
	v_mul_lo_u16 v1, v0, 10
	v_and_b32_e32 v0, 0xffff, v0
	s_delay_alu instid0(VALU_DEP_2) | instskip(NEXT) | instid1(VALU_DEP_2)
	v_sub_nc_u16 v1, v115, v1
	v_mul_u32_u24_e32 v0, 60, v0
	s_delay_alu instid0(VALU_DEP_2)
	v_and_b32_e32 v114, 0xff, v1
	ds_load_b128 v[1:4], v254 offset:12288
	v_mad_u64_u32 v[5:6], null, 0x50, v114, s[10:11]
	v_add_lshl_u32 v0, v0, v114, 4
	v_mul_lo_u16 v114, 0x89, v115
	global_load_b128 v[9:12], v[5:6], off
	s_waitcnt vmcnt(0) lgkmcnt(0)
	v_mul_f64 v[7:8], v[3:4], v[11:12]
	scratch_store_b128 off, v[9:12], off offset:624 ; 16-byte Folded Spill
	v_fma_f64 v[43:44], v[1:2], v[9:10], -v[7:8]
	v_mul_f64 v[1:2], v[1:2], v[11:12]
	s_delay_alu instid0(VALU_DEP_1)
	v_fma_f64 v[47:48], v[3:4], v[9:10], v[1:2]
	global_load_b128 v[9:12], v[5:6], off offset:16
	ds_load_b128 v[1:4], v254 offset:22528
	s_waitcnt vmcnt(0)
	scratch_store_b128 off, v[9:12], off offset:640 ; 16-byte Folded Spill
	s_waitcnt lgkmcnt(0)
	v_mul_f64 v[7:8], v[3:4], v[11:12]
	s_delay_alu instid0(VALU_DEP_1) | instskip(SKIP_1) | instid1(VALU_DEP_1)
	v_fma_f64 v[51:52], v[1:2], v[9:10], -v[7:8]
	v_mul_f64 v[1:2], v[1:2], v[11:12]
	v_fma_f64 v[55:56], v[3:4], v[9:10], v[1:2]
	global_load_b128 v[9:12], v[5:6], off offset:32
	ds_load_b128 v[1:4], v254 offset:32768
	s_waitcnt vmcnt(0) lgkmcnt(0)
	v_mul_f64 v[7:8], v[3:4], v[11:12]
	scratch_store_b128 off, v[9:12], off offset:656 ; 16-byte Folded Spill
	v_fma_f64 v[69:70], v[1:2], v[9:10], -v[7:8]
	v_mul_f64 v[1:2], v[1:2], v[11:12]
	s_delay_alu instid0(VALU_DEP_1)
	v_fma_f64 v[65:66], v[3:4], v[9:10], v[1:2]
	global_load_b128 v[9:12], v[5:6], off offset:48
	ds_load_b128 v[1:4], v254 offset:43008
	s_waitcnt vmcnt(0)
	scratch_store_b128 off, v[9:12], off offset:672 ; 16-byte Folded Spill
	s_waitcnt lgkmcnt(0)
	v_mul_f64 v[7:8], v[3:4], v[11:12]
	s_delay_alu instid0(VALU_DEP_1) | instskip(SKIP_1) | instid1(VALU_DEP_1)
	v_fma_f64 v[75:76], v[1:2], v[9:10], -v[7:8]
	v_mul_f64 v[1:2], v[1:2], v[11:12]
	v_fma_f64 v[81:82], v[3:4], v[9:10], v[1:2]
	global_load_b128 v[7:10], v[5:6], off offset:64
	ds_load_b128 v[1:4], v254 offset:53248
	s_waitcnt vmcnt(0) lgkmcnt(0)
	v_mul_f64 v[5:6], v[3:4], v[9:10]
	scratch_store_b128 off, v[7:10], off offset:688 ; 16-byte Folded Spill
	v_fma_f64 v[105:106], v[1:2], v[7:8], -v[5:6]
	v_mul_f64 v[1:2], v[1:2], v[9:10]
	s_delay_alu instid0(VALU_DEP_1) | instskip(SKIP_1) | instid1(VALU_DEP_1)
	v_fma_f64 v[95:96], v[3:4], v[7:8], v[1:2]
	v_mul_u32_u24_e32 v1, 0x199a, v201
	v_lshrrev_b32_e32 v154, 16, v1
	s_delay_alu instid0(VALU_DEP_1) | instskip(NEXT) | instid1(VALU_DEP_1)
	v_mul_lo_u16 v1, v154, 10
	v_sub_nc_u16 v155, v201, v1
	s_delay_alu instid0(VALU_DEP_1) | instskip(NEXT) | instid1(VALU_DEP_1)
	v_mul_lo_u16 v1, 0x50, v155
	v_and_b32_e32 v1, 0xffff, v1
	s_delay_alu instid0(VALU_DEP_1) | instskip(NEXT) | instid1(VALU_DEP_1)
	v_add_co_u32 v5, s26, s10, v1
	v_add_co_ci_u32_e64 v6, null, s11, 0, s26
	ds_load_b128 v[1:4], v254 offset:14336
	global_load_b128 v[9:12], v[5:6], off
	s_waitcnt vmcnt(0) lgkmcnt(0)
	v_mul_f64 v[7:8], v[3:4], v[11:12]
	scratch_store_b128 off, v[9:12], off offset:704 ; 16-byte Folded Spill
	v_fma_f64 v[49:50], v[1:2], v[9:10], -v[7:8]
	v_mul_f64 v[1:2], v[1:2], v[11:12]
	s_delay_alu instid0(VALU_DEP_1)
	v_fma_f64 v[57:58], v[3:4], v[9:10], v[1:2]
	global_load_b128 v[9:12], v[5:6], off offset:16
	ds_load_b128 v[1:4], v254 offset:24576
	s_waitcnt vmcnt(0) lgkmcnt(0)
	v_mul_f64 v[7:8], v[3:4], v[11:12]
	scratch_store_b128 off, v[9:12], off offset:720 ; 16-byte Folded Spill
	v_fma_f64 v[63:64], v[1:2], v[9:10], -v[7:8]
	v_mul_f64 v[1:2], v[1:2], v[11:12]
	s_delay_alu instid0(VALU_DEP_1)
	v_fma_f64 v[67:68], v[3:4], v[9:10], v[1:2]
	global_load_b128 v[9:12], v[5:6], off offset:32
	ds_load_b128 v[1:4], v254 offset:34816
	s_waitcnt vmcnt(0)
	scratch_store_b128 off, v[9:12], off offset:736 ; 16-byte Folded Spill
	s_waitcnt lgkmcnt(0)
	v_mul_f64 v[7:8], v[3:4], v[11:12]
	s_delay_alu instid0(VALU_DEP_1) | instskip(SKIP_1) | instid1(VALU_DEP_1)
	v_fma_f64 v[85:86], v[1:2], v[9:10], -v[7:8]
	v_mul_f64 v[1:2], v[1:2], v[11:12]
	v_fma_f64 v[79:80], v[3:4], v[9:10], v[1:2]
	global_load_b128 v[9:12], v[5:6], off offset:48
	ds_load_b128 v[1:4], v254 offset:45056
	s_waitcnt vmcnt(0) lgkmcnt(0)
	v_mul_f64 v[7:8], v[3:4], v[11:12]
	scratch_store_b128 off, v[9:12], off offset:752 ; 16-byte Folded Spill
	v_fma_f64 v[91:92], v[1:2], v[9:10], -v[7:8]
	v_mul_f64 v[1:2], v[1:2], v[11:12]
	s_delay_alu instid0(VALU_DEP_1)
	v_fma_f64 v[101:102], v[3:4], v[9:10], v[1:2]
	global_load_b128 v[7:10], v[5:6], off offset:64
	ds_load_b128 v[1:4], v254 offset:55296
	s_waitcnt vmcnt(0)
	scratch_store_b128 off, v[7:10], off offset:768 ; 16-byte Folded Spill
	s_waitcnt lgkmcnt(0)
	v_mul_f64 v[5:6], v[3:4], v[9:10]
	s_delay_alu instid0(VALU_DEP_1) | instskip(SKIP_1) | instid1(VALU_DEP_1)
	v_fma_f64 v[120:121], v[1:2], v[7:8], -v[5:6]
	v_mul_f64 v[1:2], v[1:2], v[9:10]
	v_fma_f64 v[111:112], v[3:4], v[7:8], v[1:2]
	v_mul_u32_u24_e32 v1, 0x199a, v113
	s_delay_alu instid0(VALU_DEP_1) | instskip(NEXT) | instid1(VALU_DEP_1)
	v_lshrrev_b32_e32 v156, 16, v1
	v_mul_lo_u16 v1, v156, 10
	s_delay_alu instid0(VALU_DEP_1) | instskip(NEXT) | instid1(VALU_DEP_1)
	v_sub_nc_u16 v158, v113, v1
	v_mul_lo_u16 v1, 0x50, v158
	s_delay_alu instid0(VALU_DEP_1) | instskip(NEXT) | instid1(VALU_DEP_1)
	v_and_b32_e32 v1, 0xffff, v1
	v_add_co_u32 v5, s26, s10, v1
	s_delay_alu instid0(VALU_DEP_1)
	v_add_co_ci_u32_e64 v6, null, s11, 0, s26
	ds_load_b128 v[1:4], v254 offset:16384
	global_load_b128 v[9:12], v[5:6], off
	s_waitcnt vmcnt(0) lgkmcnt(0)
	v_mul_f64 v[7:8], v[3:4], v[11:12]
	scratch_store_b128 off, v[9:12], off offset:784 ; 16-byte Folded Spill
	v_fma_f64 v[59:60], v[1:2], v[9:10], -v[7:8]
	v_mul_f64 v[1:2], v[1:2], v[11:12]
	s_delay_alu instid0(VALU_DEP_1)
	v_fma_f64 v[71:72], v[3:4], v[9:10], v[1:2]
	global_load_b128 v[9:12], v[5:6], off offset:16
	ds_load_b128 v[1:4], v254 offset:26624
	s_waitcnt vmcnt(0)
	scratch_store_b128 off, v[9:12], off offset:800 ; 16-byte Folded Spill
	s_waitcnt lgkmcnt(0)
	v_mul_f64 v[7:8], v[3:4], v[11:12]
	s_delay_alu instid0(VALU_DEP_1) | instskip(SKIP_1) | instid1(VALU_DEP_1)
	v_fma_f64 v[77:78], v[1:2], v[9:10], -v[7:8]
	v_mul_f64 v[1:2], v[1:2], v[11:12]
	v_fma_f64 v[83:84], v[3:4], v[9:10], v[1:2]
	global_load_b128 v[9:12], v[5:6], off offset:32
	ds_load_b128 v[1:4], v254 offset:36864
	s_waitcnt vmcnt(0) lgkmcnt(0)
	v_mul_f64 v[7:8], v[3:4], v[11:12]
	scratch_store_b128 off, v[9:12], off offset:816 ; 16-byte Folded Spill
	v_fma_f64 v[107:108], v[1:2], v[9:10], -v[7:8]
	v_mul_f64 v[1:2], v[1:2], v[11:12]
	s_delay_alu instid0(VALU_DEP_1)
	v_fma_f64 v[97:98], v[3:4], v[9:10], v[1:2]
	global_load_b128 v[9:12], v[5:6], off offset:48
	ds_load_b128 v[1:4], v254 offset:47104
	s_waitcnt vmcnt(0)
	scratch_store_b128 off, v[9:12], off offset:832 ; 16-byte Folded Spill
	s_waitcnt lgkmcnt(0)
	v_mul_f64 v[7:8], v[3:4], v[11:12]
	s_delay_alu instid0(VALU_DEP_1) | instskip(SKIP_1) | instid1(VALU_DEP_1)
	v_fma_f64 v[109:110], v[1:2], v[9:10], -v[7:8]
	v_mul_f64 v[1:2], v[1:2], v[11:12]
	v_fma_f64 v[118:119], v[3:4], v[9:10], v[1:2]
	global_load_b128 v[7:10], v[5:6], off offset:64
	ds_load_b128 v[1:4], v254 offset:57344
	s_waitcnt vmcnt(0) lgkmcnt(0)
	v_mul_f64 v[5:6], v[3:4], v[9:10]
	scratch_store_b128 off, v[7:10], off offset:848 ; 16-byte Folded Spill
	v_fma_f64 v[130:131], v[1:2], v[7:8], -v[5:6]
	v_mul_f64 v[1:2], v[1:2], v[9:10]
	s_delay_alu instid0(VALU_DEP_1) | instskip(SKIP_1) | instid1(VALU_DEP_1)
	v_fma_f64 v[126:127], v[3:4], v[7:8], v[1:2]
	v_mul_u32_u24_e32 v1, 0x199a, v199
	v_lshrrev_b32_e32 v160, 16, v1
	s_delay_alu instid0(VALU_DEP_1) | instskip(NEXT) | instid1(VALU_DEP_1)
	v_mul_lo_u16 v1, v160, 10
	v_sub_nc_u16 v161, v199, v1
	s_delay_alu instid0(VALU_DEP_1) | instskip(NEXT) | instid1(VALU_DEP_1)
	v_mul_lo_u16 v1, 0x50, v161
	v_and_b32_e32 v1, 0xffff, v1
	s_delay_alu instid0(VALU_DEP_1) | instskip(NEXT) | instid1(VALU_DEP_1)
	v_add_co_u32 v5, s26, s10, v1
	v_add_co_ci_u32_e64 v6, null, s11, 0, s26
	ds_load_b128 v[1:4], v254 offset:18432
	s_mov_b32 s26, 0xe8584caa
	s_mov_b32 s27, 0x3febb67a
	global_load_b128 v[9:12], v[5:6], off
	s_mov_b32 s28, s26
	s_waitcnt vmcnt(0)
	scratch_store_b128 off, v[9:12], off offset:864 ; 16-byte Folded Spill
	s_waitcnt lgkmcnt(0)
	v_mul_f64 v[7:8], v[3:4], v[11:12]
	s_delay_alu instid0(VALU_DEP_1) | instskip(SKIP_1) | instid1(VALU_DEP_1)
	v_fma_f64 v[73:74], v[1:2], v[9:10], -v[7:8]
	v_mul_f64 v[1:2], v[1:2], v[11:12]
	v_fma_f64 v[87:88], v[3:4], v[9:10], v[1:2]
	global_load_b128 v[9:12], v[5:6], off offset:16
	ds_load_b128 v[1:4], v254 offset:28672
	s_waitcnt vmcnt(0) lgkmcnt(0)
	v_mul_f64 v[7:8], v[3:4], v[11:12]
	scratch_store_b128 off, v[9:12], off offset:880 ; 16-byte Folded Spill
	v_fma_f64 v[93:94], v[1:2], v[9:10], -v[7:8]
	v_mul_f64 v[1:2], v[1:2], v[11:12]
	s_delay_alu instid0(VALU_DEP_1)
	v_fma_f64 v[103:104], v[3:4], v[9:10], v[1:2]
	global_load_b128 v[9:12], v[5:6], off offset:32
	ds_load_b128 v[1:4], v254 offset:38912
	s_waitcnt vmcnt(0)
	scratch_store_b128 off, v[9:12], off offset:896 ; 16-byte Folded Spill
	s_waitcnt lgkmcnt(0)
	v_mul_f64 v[7:8], v[3:4], v[11:12]
	s_delay_alu instid0(VALU_DEP_1) | instskip(SKIP_1) | instid1(VALU_DEP_1)
	v_fma_f64 v[122:123], v[1:2], v[9:10], -v[7:8]
	v_mul_f64 v[1:2], v[1:2], v[11:12]
	v_fma_f64 v[116:117], v[3:4], v[9:10], v[1:2]
	global_load_b128 v[9:12], v[5:6], off offset:48
	ds_load_b128 v[1:4], v254 offset:49152
	s_waitcnt vmcnt(0) lgkmcnt(0)
	v_mul_f64 v[7:8], v[3:4], v[11:12]
	scratch_store_b128 off, v[9:12], off offset:912 ; 16-byte Folded Spill
	v_fma_f64 v[124:125], v[1:2], v[9:10], -v[7:8]
	v_mul_f64 v[1:2], v[1:2], v[11:12]
	s_delay_alu instid0(VALU_DEP_1)
	v_fma_f64 v[128:129], v[3:4], v[9:10], v[1:2]
	global_load_b128 v[7:10], v[5:6], off offset:64
	ds_load_b128 v[1:4], v254 offset:59392
	v_add_f64 v[166:167], v[103:104], v[128:129]
	s_waitcnt vmcnt(0)
	scratch_store_b128 off, v[7:10], off offset:928 ; 16-byte Folded Spill
	s_waitcnt lgkmcnt(0)
	v_mul_f64 v[5:6], v[3:4], v[9:10]
	s_delay_alu instid0(VALU_DEP_1) | instskip(SKIP_2) | instid1(VALU_DEP_2)
	v_fma_f64 v[134:135], v[1:2], v[7:8], -v[5:6]
	v_mul_f64 v[1:2], v[1:2], v[9:10]
	v_add_f64 v[5:6], v[37:38], v[53:54]
	v_fma_f64 v[132:133], v[3:4], v[7:8], v[1:2]
	ds_load_b128 v[1:4], v254
	v_add_f64 v[7:8], v[35:36], v[41:42]
	s_waitcnt lgkmcnt(0)
	v_fma_f64 v[148:149], v[5:6], -0.5, v[1:2]
	v_add_f64 v[5:6], v[39:40], v[61:62]
	v_add_f64 v[1:2], v[1:2], v[37:38]
	v_add_f64 v[37:38], v[37:38], -v[53:54]
	v_add_f64 v[7:8], v[7:8], v[89:90]
	s_delay_alu instid0(VALU_DEP_4) | instskip(SKIP_4) | instid1(VALU_DEP_4)
	v_fma_f64 v[150:151], v[5:6], -0.5, v[3:4]
	v_add_f64 v[5:6], v[33:34], v[45:46]
	v_add_f64 v[3:4], v[3:4], v[39:40]
	;; [unrolled: 1-line block ×3, first 2 shown]
	v_add_f64 v[39:40], v[39:40], -v[61:62]
	v_add_f64 v[5:6], v[5:6], v[99:100]
	s_delay_alu instid0(VALU_DEP_4) | instskip(SKIP_1) | instid1(VALU_DEP_4)
	v_add_f64 v[3:4], v[3:4], v[61:62]
	v_fma_f64 v[61:62], v[37:38], s[28:29], v[150:151]
	v_fma_f64 v[53:54], v[39:40], s[26:27], v[148:149]
	;; [unrolled: 1-line block ×3, first 2 shown]
	v_add_f64 v[29:30], v[1:2], v[5:6]
	v_add_f64 v[25:26], v[1:2], -v[5:6]
	v_add_f64 v[5:6], v[51:52], v[75:76]
	v_add_f64 v[31:32], v[3:4], v[7:8]
	v_add_f64 v[27:28], v[3:4], -v[7:8]
	ds_load_b128 v[1:4], v254 offset:2048
	v_add_f64 v[7:8], v[47:48], v[65:66]
	s_waitcnt lgkmcnt(0)
	v_fma_f64 v[144:145], v[5:6], -0.5, v[1:2]
	v_add_f64 v[5:6], v[55:56], v[81:82]
	v_add_f64 v[1:2], v[1:2], v[51:52]
	v_add_f64 v[51:52], v[51:52], -v[75:76]
	v_add_f64 v[7:8], v[7:8], v[95:96]
	s_delay_alu instid0(VALU_DEP_4) | instskip(SKIP_4) | instid1(VALU_DEP_4)
	v_fma_f64 v[146:147], v[5:6], -0.5, v[3:4]
	v_add_f64 v[5:6], v[43:44], v[69:70]
	v_add_f64 v[3:4], v[3:4], v[55:56]
	;; [unrolled: 1-line block ×3, first 2 shown]
	v_add_f64 v[55:56], v[55:56], -v[81:82]
	v_add_f64 v[5:6], v[5:6], v[105:106]
	s_delay_alu instid0(VALU_DEP_4) | instskip(SKIP_1) | instid1(VALU_DEP_4)
	v_add_f64 v[3:4], v[3:4], v[81:82]
	v_fma_f64 v[81:82], v[51:52], s[28:29], v[146:147]
	v_fma_f64 v[75:76], v[55:56], s[26:27], v[144:145]
	;; [unrolled: 1-line block ×3, first 2 shown]
	v_add_f64 v[21:22], v[1:2], v[5:6]
	v_add_f64 v[17:18], v[1:2], -v[5:6]
	v_add_f64 v[5:6], v[63:64], v[91:92]
	v_add_f64 v[23:24], v[3:4], v[7:8]
	v_add_f64 v[19:20], v[3:4], -v[7:8]
	ds_load_b128 v[1:4], v254 offset:4096
	v_add_f64 v[7:8], v[57:58], v[79:80]
	s_waitcnt lgkmcnt(0)
	v_fma_f64 v[140:141], v[5:6], -0.5, v[1:2]
	v_add_f64 v[5:6], v[67:68], v[101:102]
	v_add_f64 v[1:2], v[1:2], v[63:64]
	s_delay_alu instid0(VALU_DEP_4) | instskip(NEXT) | instid1(VALU_DEP_3)
	v_add_f64 v[7:8], v[7:8], v[111:112]
	v_fma_f64 v[142:143], v[5:6], -0.5, v[3:4]
	v_add_f64 v[5:6], v[49:50], v[85:86]
	v_add_f64 v[3:4], v[3:4], v[67:68]
	;; [unrolled: 1-line block ×3, first 2 shown]
	v_add_f64 v[67:68], v[67:68], -v[101:102]
	s_delay_alu instid0(VALU_DEP_4) | instskip(NEXT) | instid1(VALU_DEP_4)
	v_add_f64 v[5:6], v[5:6], v[120:121]
	v_add_f64 v[3:4], v[3:4], v[101:102]
	v_add_f64 v[101:102], v[103:104], -v[128:129]
	s_delay_alu instid0(VALU_DEP_3)
	v_add_f64 v[13:14], v[1:2], v[5:6]
	v_add_f64 v[9:10], v[1:2], -v[5:6]
	v_add_f64 v[5:6], v[77:78], v[109:110]
	v_add_f64 v[15:16], v[3:4], v[7:8]
	v_add_f64 v[11:12], v[3:4], -v[7:8]
	ds_load_b128 v[1:4], v254 offset:6144
	s_waitcnt lgkmcnt(0)
	v_fma_f64 v[136:137], v[5:6], -0.5, v[1:2]
	v_add_f64 v[5:6], v[83:84], v[118:119]
	v_add_f64 v[1:2], v[1:2], v[77:78]
	s_delay_alu instid0(VALU_DEP_2) | instskip(SKIP_4) | instid1(VALU_DEP_4)
	v_fma_f64 v[138:139], v[5:6], -0.5, v[3:4]
	v_add_f64 v[5:6], v[59:60], v[107:108]
	v_add_f64 v[3:4], v[3:4], v[83:84]
	v_add_f64 v[83:84], v[83:84], -v[118:119]
	v_add_f64 v[1:2], v[1:2], v[109:110]
	v_add_f64 v[152:153], v[5:6], v[130:131]
	;; [unrolled: 1-line block ×4, first 2 shown]
	s_delay_alu instid0(VALU_DEP_2) | instskip(NEXT) | instid1(VALU_DEP_4)
	v_add_f64 v[162:163], v[5:6], v[126:127]
	v_add_f64 v[5:6], v[1:2], v[152:153]
	v_add_f64 v[1:2], v[1:2], -v[152:153]
	v_add_f64 v[152:153], v[93:94], v[124:125]
	s_delay_alu instid0(VALU_DEP_4)
	v_add_f64 v[7:8], v[3:4], v[162:163]
	v_add_f64 v[3:4], v[3:4], -v[162:163]
	ds_load_b128 v[162:165], v254 offset:8192
	s_waitcnt lgkmcnt(0)
	s_waitcnt_vscnt null, 0x0
	s_barrier
	buffer_gl0_inv
	ds_store_b128 v157, v[29:32]
	ds_store_b128 v157, v[25:28] offset:480
	v_add_f64 v[25:26], v[45:46], v[99:100]
	v_add_f64 v[27:28], v[41:42], v[89:90]
	v_add_f64 v[41:42], v[41:42], -v[89:90]
	v_add_f64 v[45:46], v[45:46], -v[99:100]
	scratch_store_b32 off, v157, off offset:960 ; 4-byte Folded Spill
	v_fma_f64 v[152:153], v[152:153], -0.5, v[162:163]
	v_add_f64 v[162:163], v[162:163], v[93:94]
	v_fma_f64 v[170:171], v[166:167], -0.5, v[164:165]
	v_add_f64 v[164:165], v[164:165], v[103:104]
	v_add_f64 v[103:104], v[93:94], -v[124:125]
	v_fma_f64 v[33:34], v[25:26], -0.5, v[33:34]
	v_fma_f64 v[35:36], v[27:28], -0.5, v[35:36]
	v_fma_f64 v[99:100], v[101:102], s[26:27], v[152:153]
	v_add_f64 v[166:167], v[162:163], v[124:125]
	v_add_f64 v[162:163], v[73:74], v[122:123]
	;; [unrolled: 1-line block ×3, first 2 shown]
	v_mul_u32_u24_e32 v129, 0x445, v200
	v_mul_u32_u24_e32 v128, 0x445, v172
	;; [unrolled: 1-line block ×4, first 2 shown]
	v_fma_f64 v[27:28], v[41:42], s[26:27], v[33:34]
	v_fma_f64 v[33:34], v[41:42], s[28:29], v[33:34]
	;; [unrolled: 1-line block ×5, first 2 shown]
	v_lshrrev_b32_e32 v150, 16, v129
	v_add_f64 v[173:174], v[162:163], v[134:135]
	v_add_f64 v[162:163], v[87:88], v[116:117]
	v_mul_f64 v[37:38], v[33:34], -0.5
	v_mul_f64 v[29:30], v[25:26], s[26:27]
	s_delay_alu instid0(VALU_DEP_3)
	v_add_f64 v[175:176], v[162:163], v[132:133]
	v_add_f64 v[162:163], v[166:167], v[173:174]
	v_add_f64 v[166:167], v[166:167], -v[173:174]
	v_fma_f64 v[37:38], v[35:36], s[26:27], v[37:38]
	v_mul_f64 v[35:36], v[35:36], -0.5
	v_fma_f64 v[29:30], v[27:28], 0.5, v[29:30]
	v_mul_f64 v[27:28], v[27:28], s[28:29]
	v_add_f64 v[164:165], v[168:169], v[175:176]
	v_add_f64 v[168:169], v[168:169], -v[175:176]
	v_fma_f64 v[45:46], v[33:34], s[28:29], v[35:36]
	v_add_f64 v[33:34], v[39:40], v[37:38]
	v_add_f64 v[37:38], v[39:40], -v[37:38]
	v_fma_f64 v[31:32], v[25:26], 0.5, v[27:28]
	v_add_f64 v[25:26], v[53:54], v[29:30]
	v_add_f64 v[29:30], v[53:54], -v[29:30]
	v_add_f64 v[53:54], v[69:70], -v[105:106]
	v_add_f64 v[35:36], v[41:42], v[45:46]
	v_add_f64 v[39:40], v[41:42], -v[45:46]
	v_add_f64 v[41:42], v[69:70], v[105:106]
	v_add_f64 v[45:46], v[65:66], v[95:96]
	v_add_f64 v[65:66], v[65:66], -v[95:96]
	v_add_f64 v[27:28], v[61:62], v[31:32]
	v_add_f64 v[31:32], v[61:62], -v[31:32]
	v_add_f64 v[95:96], v[97:98], -v[126:127]
	;; [unrolled: 1-line block ×3, first 2 shown]
	ds_store_b128 v157, v[25:28] offset:160
	ds_store_b128 v157, v[33:36] offset:320
	;; [unrolled: 1-line block ×4, first 2 shown]
	v_fma_f64 v[69:70], v[41:42], -0.5, v[43:44]
	v_fma_f64 v[61:62], v[45:46], -0.5, v[47:48]
	scratch_store_b32 off, v0, off offset:956 ; 4-byte Folded Spill
	v_fma_f64 v[43:44], v[65:66], s[26:27], v[69:70]
	v_fma_f64 v[65:66], v[65:66], s[28:29], v[69:70]
	;; [unrolled: 1-line block ×5, first 2 shown]
	s_delay_alu instid0(VALU_DEP_4) | instskip(NEXT) | instid1(VALU_DEP_4)
	v_mul_f64 v[53:54], v[65:66], -0.5
	v_mul_f64 v[45:46], v[41:42], s[26:27]
	s_delay_alu instid0(VALU_DEP_2) | instskip(SKIP_1) | instid1(VALU_DEP_3)
	v_fma_f64 v[61:62], v[51:52], s[26:27], v[53:54]
	v_mul_f64 v[51:52], v[51:52], -0.5
	v_fma_f64 v[45:46], v[43:44], 0.5, v[45:46]
	v_mul_f64 v[43:44], v[43:44], s[28:29]
	s_delay_alu instid0(VALU_DEP_4) | instskip(NEXT) | instid1(VALU_DEP_4)
	v_add_f64 v[144:145], v[55:56], -v[61:62]
	v_fma_f64 v[65:66], v[65:66], s[28:29], v[51:52]
	v_add_f64 v[51:52], v[55:56], v[61:62]
	v_add_f64 v[55:56], v[85:86], v[120:121]
	;; [unrolled: 1-line block ×3, first 2 shown]
	v_add_f64 v[79:80], v[79:80], -v[111:112]
	v_fma_f64 v[47:48], v[41:42], 0.5, v[43:44]
	v_add_f64 v[41:42], v[75:76], v[45:46]
	v_add_f64 v[45:46], v[75:76], -v[45:46]
	v_add_f64 v[75:76], v[63:64], -v[91:92]
	;; [unrolled: 1-line block ×3, first 2 shown]
	v_fma_f64 v[77:78], v[83:84], s[26:27], v[136:137]
	v_add_f64 v[53:54], v[69:70], v[65:66]
	v_add_f64 v[146:147], v[69:70], -v[65:66]
	v_add_f64 v[65:66], v[85:86], -v[120:121]
	v_fma_f64 v[69:70], v[61:62], -0.5, v[57:58]
	v_fma_f64 v[49:50], v[55:56], -0.5, v[49:50]
	v_add_f64 v[43:44], v[81:82], v[47:48]
	v_add_f64 v[47:48], v[81:82], -v[47:48]
	v_fma_f64 v[81:82], v[67:68], s[26:27], v[140:141]
	v_fma_f64 v[85:86], v[75:76], s[28:29], v[142:143]
	;; [unrolled: 1-line block ×3, first 2 shown]
	ds_store_b128 v0, v[21:24]
	ds_store_b128 v0, v[41:44] offset:160
	ds_store_b128 v0, v[51:54] offset:320
	;; [unrolled: 1-line block ×5, first 2 shown]
	v_fma_f64 v[55:56], v[65:66], s[28:29], v[69:70]
	v_fma_f64 v[57:58], v[79:80], s[26:27], v[49:50]
	;; [unrolled: 1-line block ×5, first 2 shown]
	v_mad_u16 v0, v154, 60, v155
	v_lshrrev_b16 v144, 13, v114
	v_mul_u32_u24_e32 v120, 0x445, v199
	v_lshrrev_b32_e32 v145, 16, v128
	v_mul_u32_u24_e32 v121, 0x889, v252
	v_and_b32_e32 v0, 0xffff, v0
	s_delay_alu instid0(VALU_DEP_1) | instskip(SKIP_3) | instid1(VALU_DEP_2)
	v_lshlrev_b32_e32 v0, 4, v0
	scratch_store_b32 off, v0, off offset:952 ; 4-byte Folded Spill
	v_mul_f64 v[61:62], v[55:56], s[26:27]
	v_mul_f64 v[67:68], v[49:50], -0.5
	v_fma_f64 v[61:62], v[57:58], 0.5, v[61:62]
	v_mul_f64 v[57:58], v[57:58], s[28:29]
	s_delay_alu instid0(VALU_DEP_3) | instskip(SKIP_1) | instid1(VALU_DEP_3)
	v_fma_f64 v[69:70], v[65:66], s[26:27], v[67:68]
	v_mul_f64 v[65:66], v[65:66], -0.5
	v_fma_f64 v[63:64], v[55:56], 0.5, v[57:58]
	v_add_f64 v[55:56], v[81:82], v[61:62]
	s_delay_alu instid0(VALU_DEP_3)
	v_fma_f64 v[49:50], v[49:50], s[28:29], v[65:66]
	v_add_f64 v[65:66], v[79:80], v[69:70]
	v_add_f64 v[79:80], v[79:80], -v[69:70]
	v_add_f64 v[69:70], v[97:98], v[126:127]
	v_add_f64 v[61:62], v[81:82], -v[61:62]
	v_fma_f64 v[97:98], v[91:92], s[28:29], v[138:139]
	v_fma_f64 v[91:92], v[91:92], s[26:27], v[138:139]
	v_mul_u32_u24_e32 v127, 0x889, v198
	v_mul_u32_u24_e32 v126, 0x889, v182
	v_lshrrev_b32_e32 v138, 17, v125
	s_delay_alu instid0(VALU_DEP_3) | instskip(NEXT) | instid1(VALU_DEP_3)
	v_lshrrev_b32_e32 v142, 17, v127
	v_lshrrev_b32_e32 v140, 17, v126
	v_add_f64 v[57:58], v[85:86], v[63:64]
	v_add_f64 v[63:64], v[85:86], -v[63:64]
	v_add_f64 v[67:68], v[75:76], v[49:50]
	v_add_f64 v[81:82], v[75:76], -v[49:50]
	;; [unrolled: 2-line block ×3, first 2 shown]
	v_fma_f64 v[89:90], v[69:70], -0.5, v[71:72]
	v_fma_f64 v[107:108], v[103:104], s[28:29], v[170:171]
	ds_store_b128 v0, v[13:16]
	ds_store_b128 v0, v[55:58] offset:160
	ds_store_b128 v0, v[65:68] offset:320
	;; [unrolled: 1-line block ×5, first 2 shown]
	v_mad_u16 v0, v156, 60, v158
	v_mul_u32_u24_e32 v130, 0x445, v185
	v_fma_f64 v[49:50], v[49:50], -0.5, v[59:60]
	v_fma_f64 v[59:60], v[85:86], s[28:29], v[89:90]
	s_delay_alu instid0(VALU_DEP_4) | instskip(NEXT) | instid1(VALU_DEP_4)
	v_and_b32_e32 v0, 0xffff, v0
	v_lshrrev_b32_e32 v147, 16, v130
	s_delay_alu instid0(VALU_DEP_2)
	v_lshlrev_b32_e32 v0, 4, v0
	scratch_store_b32 off, v0, off offset:948 ; 4-byte Folded Spill
	v_fma_f64 v[69:70], v[95:96], s[26:27], v[49:50]
	v_fma_f64 v[49:50], v[95:96], s[28:29], v[49:50]
	v_mul_f64 v[71:72], v[59:60], s[26:27]
	v_add_f64 v[95:96], v[116:117], v[132:133]
	v_lshrrev_b32_e32 v132, 17, v121
	s_delay_alu instid0(VALU_DEP_3) | instskip(SKIP_1) | instid1(VALU_DEP_4)
	v_fma_f64 v[75:76], v[69:70], 0.5, v[71:72]
	v_mul_f64 v[69:70], v[69:70], s[28:29]
	v_fma_f64 v[87:88], v[95:96], -0.5, v[87:88]
	s_delay_alu instid0(VALU_DEP_2) | instskip(NEXT) | instid1(VALU_DEP_4)
	v_fma_f64 v[59:60], v[59:60], 0.5, v[69:70]
	v_add_f64 v[69:70], v[77:78], v[75:76]
	v_add_f64 v[75:76], v[77:78], -v[75:76]
	s_delay_alu instid0(VALU_DEP_3)
	v_add_f64 v[71:72], v[97:98], v[59:60]
	v_add_f64 v[77:78], v[97:98], -v[59:60]
	v_fma_f64 v[59:60], v[83:84], s[28:29], v[136:137]
	v_fma_f64 v[83:84], v[85:86], s[26:27], v[89:90]
	v_mul_f64 v[85:86], v[49:50], -0.5
	v_lshrrev_b32_e32 v136, 17, v124
	s_delay_alu instid0(VALU_DEP_2) | instskip(SKIP_1) | instid1(VALU_DEP_1)
	v_fma_f64 v[89:90], v[83:84], s[26:27], v[85:86]
	v_mul_f64 v[83:84], v[83:84], -0.5
	v_fma_f64 v[49:50], v[49:50], s[28:29], v[83:84]
	s_delay_alu instid0(VALU_DEP_3) | instskip(SKIP_2) | instid1(VALU_DEP_4)
	v_add_f64 v[83:84], v[59:60], v[89:90]
	v_add_f64 v[89:90], v[59:60], -v[89:90]
	v_add_f64 v[59:60], v[122:123], -v[134:135]
	v_add_f64 v[85:86], v[91:92], v[49:50]
	v_add_f64 v[91:92], v[91:92], -v[49:50]
	v_add_f64 v[49:50], v[122:123], v[134:135]
	ds_store_b128 v0, v[5:8]
	ds_store_b128 v0, v[69:72] offset:160
	ds_store_b128 v0, v[83:86] offset:320
	;; [unrolled: 1-line block ×5, first 2 shown]
	v_mad_u16 v0, v160, 60, v161
	v_mul_u32_u24_e32 v123, 0x889, v181
	v_mul_u32_u24_e32 v122, 0x889, v184
	v_fma_f64 v[49:50], v[49:50], -0.5, v[73:74]
	v_fma_f64 v[73:74], v[59:60], s[28:29], v[87:88]
	v_fma_f64 v[59:60], v[59:60], s[26:27], v[87:88]
	v_and_b32_e32 v0, 0xffff, v0
	v_lshrrev_b32_e32 v134, 17, v123
	v_lshrrev_b32_e32 v133, 17, v122
	s_delay_alu instid0(VALU_DEP_3) | instskip(SKIP_4) | instid1(VALU_DEP_2)
	v_lshlrev_b32_e32 v0, 4, v0
	scratch_store_b32 off, v0, off offset:944 ; 4-byte Folded Spill
	v_fma_f64 v[93:94], v[105:106], s[26:27], v[49:50]
	v_mul_f64 v[95:96], v[73:74], s[26:27]
	v_fma_f64 v[49:50], v[105:106], s[28:29], v[49:50]
	v_fma_f64 v[97:98], v[93:94], 0.5, v[95:96]
	v_mul_f64 v[93:94], v[93:94], s[28:29]
	s_delay_alu instid0(VALU_DEP_3) | instskip(NEXT) | instid1(VALU_DEP_2)
	v_mul_f64 v[87:88], v[49:50], -0.5
	v_fma_f64 v[73:74], v[73:74], 0.5, v[93:94]
	s_delay_alu instid0(VALU_DEP_2)
	v_fma_f64 v[87:88], v[59:60], s[26:27], v[87:88]
	v_mul_f64 v[59:60], v[59:60], -0.5
	v_add_f64 v[93:94], v[99:100], v[97:98]
	v_add_f64 v[97:98], v[99:100], -v[97:98]
	v_add_f64 v[95:96], v[107:108], v[73:74]
	v_add_f64 v[99:100], v[107:108], -v[73:74]
	v_fma_f64 v[73:74], v[101:102], s[28:29], v[152:153]
	v_fma_f64 v[107:108], v[103:104], s[26:27], v[170:171]
	;; [unrolled: 1-line block ×3, first 2 shown]
	v_lshrrev_b32_e32 v152, 16, v120
	s_delay_alu instid0(VALU_DEP_4) | instskip(SKIP_1) | instid1(VALU_DEP_4)
	v_add_f64 v[101:102], v[73:74], v[87:88]
	v_add_f64 v[105:106], v[73:74], -v[87:88]
	v_add_f64 v[103:104], v[107:108], v[49:50]
	v_add_f64 v[107:108], v[107:108], -v[49:50]
	ds_store_b128 v0, v[162:165]
	ds_store_b128 v0, v[93:96] offset:160
	ds_store_b128 v0, v[101:104] offset:320
	;; [unrolled: 1-line block ×5, first 2 shown]
	v_mul_lo_u16 v0, 0x89, v253
	s_waitcnt lgkmcnt(0)
	s_waitcnt_vscnt null, 0x0
	s_barrier
	buffer_gl0_inv
	v_lshrrev_b16 v0, 13, v0
	s_delay_alu instid0(VALU_DEP_1) | instskip(SKIP_1) | instid1(VALU_DEP_2)
	v_mul_lo_u16 v1, v0, 60
	v_and_b32_e32 v0, 0xffff, v0
	v_sub_nc_u16 v1, v253, v1
	s_delay_alu instid0(VALU_DEP_2) | instskip(NEXT) | instid1(VALU_DEP_2)
	v_mul_u32_u24_e32 v0, 0x78, v0
	v_and_b32_e32 v131, 0xff, v1
	s_delay_alu instid0(VALU_DEP_1) | instskip(NEXT) | instid1(VALU_DEP_3)
	v_lshlrev_b32_e32 v1, 4, v131
	v_add_lshl_u32 v0, v0, v131, 4
	v_mul_u32_u24_e32 v131, 0x223, v113
	global_load_b128 v[7:10], v1, s[10:11] offset:800
	ds_load_b128 v[1:4], v254 offset:30720
	scratch_store_b32 off, v0, off offset:1244 ; 4-byte Folded Spill
	s_waitcnt vmcnt(0) lgkmcnt(0)
	v_mul_f64 v[5:6], v[3:4], v[9:10]
	scratch_store_b128 off, v[7:10], off offset:964 ; 16-byte Folded Spill
	v_fma_f64 v[5:6], v[1:2], v[7:8], -v[5:6]
	v_mul_f64 v[1:2], v[1:2], v[9:10]
	s_delay_alu instid0(VALU_DEP_1) | instskip(SKIP_1) | instid1(VALU_DEP_1)
	v_fma_f64 v[7:8], v[3:4], v[7:8], v[1:2]
	v_mul_lo_u16 v1, v144, 60
	v_sub_nc_u16 v1, v115, v1
	s_delay_alu instid0(VALU_DEP_1) | instskip(NEXT) | instid1(VALU_DEP_1)
	v_and_b32_e32 v149, 0xff, v1
	v_lshlrev_b32_e32 v1, 4, v149
	global_load_b128 v[11:14], v1, s[10:11] offset:800
	ds_load_b128 v[1:4], v254 offset:32768
	s_waitcnt vmcnt(0)
	scratch_store_b128 off, v[11:14], off offset:980 ; 16-byte Folded Spill
	s_waitcnt lgkmcnt(0)
	v_mul_f64 v[9:10], v[3:4], v[13:14]
	s_delay_alu instid0(VALU_DEP_1) | instskip(SKIP_1) | instid1(VALU_DEP_1)
	v_fma_f64 v[9:10], v[1:2], v[11:12], -v[9:10]
	v_mul_f64 v[1:2], v[1:2], v[13:14]
	v_fma_f64 v[11:12], v[3:4], v[11:12], v[1:2]
	v_mul_u32_u24_e32 v1, 0x445, v201
	s_delay_alu instid0(VALU_DEP_1) | instskip(NEXT) | instid1(VALU_DEP_1)
	v_lshrrev_b32_e32 v156, 16, v1
	v_mul_lo_u16 v1, v156, 60
	s_delay_alu instid0(VALU_DEP_1) | instskip(NEXT) | instid1(VALU_DEP_1)
	v_sub_nc_u16 v159, v201, v1
	v_and_b32_e32 v1, 0xffff, v159
	s_delay_alu instid0(VALU_DEP_1)
	v_lshlrev_b32_e32 v1, 4, v1
	global_load_b128 v[15:18], v1, s[10:11] offset:800
	ds_load_b128 v[1:4], v254 offset:34816
	s_waitcnt vmcnt(0) lgkmcnt(0)
	v_mul_f64 v[13:14], v[3:4], v[17:18]
	scratch_store_b128 off, v[15:18], off offset:996 ; 16-byte Folded Spill
	v_fma_f64 v[13:14], v[1:2], v[15:16], -v[13:14]
	v_mul_f64 v[1:2], v[1:2], v[17:18]
	s_delay_alu instid0(VALU_DEP_1) | instskip(SKIP_1) | instid1(VALU_DEP_1)
	v_fma_f64 v[15:16], v[3:4], v[15:16], v[1:2]
	v_mul_u32_u24_e32 v1, 0x445, v113
	v_lshrrev_b32_e32 v154, 16, v1
	s_delay_alu instid0(VALU_DEP_1) | instskip(NEXT) | instid1(VALU_DEP_1)
	v_mul_lo_u16 v1, v154, 60
	v_sub_nc_u16 v158, v113, v1
	s_delay_alu instid0(VALU_DEP_1) | instskip(NEXT) | instid1(VALU_DEP_1)
	v_and_b32_e32 v1, 0xffff, v158
	v_lshlrev_b32_e32 v1, 4, v1
	global_load_b128 v[19:22], v1, s[10:11] offset:800
	ds_load_b128 v[1:4], v254 offset:36864
	s_waitcnt vmcnt(0)
	scratch_store_b128 off, v[19:22], off offset:1012 ; 16-byte Folded Spill
	s_waitcnt lgkmcnt(0)
	v_mul_f64 v[17:18], v[3:4], v[21:22]
	s_delay_alu instid0(VALU_DEP_1) | instskip(SKIP_1) | instid1(VALU_DEP_1)
	v_fma_f64 v[17:18], v[1:2], v[19:20], -v[17:18]
	v_mul_f64 v[1:2], v[1:2], v[21:22]
	v_fma_f64 v[19:20], v[3:4], v[19:20], v[1:2]
	v_mul_lo_u16 v1, v152, 60
	s_delay_alu instid0(VALU_DEP_1) | instskip(NEXT) | instid1(VALU_DEP_1)
	v_sub_nc_u16 v157, v199, v1
	v_and_b32_e32 v1, 0xffff, v157
	s_delay_alu instid0(VALU_DEP_1)
	v_lshlrev_b32_e32 v1, 4, v1
	global_load_b128 v[23:26], v1, s[10:11] offset:800
	ds_load_b128 v[1:4], v254 offset:38912
	s_waitcnt vmcnt(0) lgkmcnt(0)
	v_mul_f64 v[21:22], v[3:4], v[25:26]
	scratch_store_b128 off, v[23:26], off offset:1028 ; 16-byte Folded Spill
	v_fma_f64 v[21:22], v[1:2], v[23:24], -v[21:22]
	v_mul_f64 v[1:2], v[1:2], v[25:26]
	s_delay_alu instid0(VALU_DEP_1) | instskip(SKIP_1) | instid1(VALU_DEP_1)
	v_fma_f64 v[23:24], v[3:4], v[23:24], v[1:2]
	v_mul_lo_u16 v1, v150, 60
	v_sub_nc_u16 v155, v200, v1
	s_delay_alu instid0(VALU_DEP_1) | instskip(NEXT) | instid1(VALU_DEP_1)
	v_and_b32_e32 v1, 0xffff, v155
	v_lshlrev_b32_e32 v1, 4, v1
	global_load_b128 v[27:30], v1, s[10:11] offset:800
	ds_load_b128 v[1:4], v254 offset:40960
	s_waitcnt vmcnt(0)
	scratch_store_b128 off, v[27:30], off offset:1044 ; 16-byte Folded Spill
	s_waitcnt lgkmcnt(0)
	v_mul_f64 v[25:26], v[3:4], v[29:30]
	s_delay_alu instid0(VALU_DEP_1) | instskip(SKIP_1) | instid1(VALU_DEP_1)
	v_fma_f64 v[25:26], v[1:2], v[27:28], -v[25:26]
	v_mul_f64 v[1:2], v[1:2], v[29:30]
	v_fma_f64 v[27:28], v[3:4], v[27:28], v[1:2]
	v_mul_lo_u16 v1, v147, 60
	s_delay_alu instid0(VALU_DEP_1) | instskip(NEXT) | instid1(VALU_DEP_1)
	v_sub_nc_u16 v153, v185, v1
	v_and_b32_e32 v1, 0xffff, v153
	s_delay_alu instid0(VALU_DEP_1)
	v_lshlrev_b32_e32 v1, 4, v1
	global_load_b128 v[31:34], v1, s[10:11] offset:800
	ds_load_b128 v[1:4], v254 offset:43008
	s_waitcnt vmcnt(0) lgkmcnt(0)
	v_mul_f64 v[29:30], v[3:4], v[33:34]
	scratch_store_b128 off, v[31:34], off offset:1060 ; 16-byte Folded Spill
	v_fma_f64 v[29:30], v[1:2], v[31:32], -v[29:30]
	v_mul_f64 v[1:2], v[1:2], v[33:34]
	s_delay_alu instid0(VALU_DEP_1) | instskip(SKIP_1) | instid1(VALU_DEP_1)
	v_fma_f64 v[31:32], v[3:4], v[31:32], v[1:2]
	;; [unrolled: 30-line block ×5, first 2 shown]
	v_mul_lo_u16 v1, v133, 60
	v_sub_nc_u16 v137, v184, v1
	s_delay_alu instid0(VALU_DEP_1) | instskip(NEXT) | instid1(VALU_DEP_1)
	v_and_b32_e32 v1, 0xffff, v137
	v_lshlrev_b32_e32 v1, 4, v1
	global_load_b128 v[43:46], v1, s[10:11] offset:800
	ds_load_b128 v[1:4], v254 offset:57344
	s_waitcnt vmcnt(0)
	scratch_store_b128 off, v[43:46], off offset:1172 ; 16-byte Folded Spill
	s_waitcnt lgkmcnt(0)
	v_mul_f64 v[41:42], v[3:4], v[45:46]
	s_delay_alu instid0(VALU_DEP_1) | instskip(SKIP_1) | instid1(VALU_DEP_1)
	v_fma_f64 v[177:178], v[1:2], v[43:44], -v[41:42]
	v_mul_f64 v[1:2], v[1:2], v[45:46]
	v_fma_f64 v[179:180], v[3:4], v[43:44], v[1:2]
	v_mul_lo_u16 v1, v132, 60
	s_delay_alu instid0(VALU_DEP_1) | instskip(NEXT) | instid1(VALU_DEP_1)
	v_sub_nc_u16 v135, v252, v1
	v_and_b32_e32 v1, 0xffff, v135
	s_delay_alu instid0(VALU_DEP_1)
	v_lshlrev_b32_e32 v1, 4, v1
	global_load_b128 v[43:46], v1, s[10:11] offset:800
	ds_load_b128 v[1:4], v254 offset:59392
	s_waitcnt vmcnt(0) lgkmcnt(0)
	v_mul_f64 v[41:42], v[3:4], v[45:46]
	scratch_store_b128 off, v[43:46], off offset:1188 ; 16-byte Folded Spill
	v_fma_f64 v[118:119], v[1:2], v[43:44], -v[41:42]
	v_mul_f64 v[1:2], v[1:2], v[45:46]
	s_delay_alu instid0(VALU_DEP_1)
	v_fma_f64 v[116:117], v[3:4], v[43:44], v[1:2]
	ds_load_b128 v[1:4], v254
	s_waitcnt lgkmcnt(0)
	v_add_f64 v[105:106], v[1:2], -v[5:6]
	v_add_f64 v[107:108], v[3:4], -v[7:8]
	ds_load_b128 v[5:8], v254 offset:26624
	v_fma_f64 v[109:110], v[1:2], 2.0, -v[105:106]
	v_fma_f64 v[111:112], v[3:4], 2.0, -v[107:108]
	ds_load_b128 v[1:4], v254 offset:2048
	s_waitcnt lgkmcnt(0)
	v_add_f64 v[97:98], v[1:2], -v[9:10]
	v_add_f64 v[99:100], v[3:4], -v[11:12]
	s_delay_alu instid0(VALU_DEP_2) | instskip(NEXT) | instid1(VALU_DEP_2)
	v_fma_f64 v[101:102], v[1:2], 2.0, -v[97:98]
	v_fma_f64 v[103:104], v[3:4], 2.0, -v[99:100]
	ds_load_b128 v[1:4], v254 offset:4096
	s_waitcnt lgkmcnt(0)
	v_add_f64 v[89:90], v[1:2], -v[13:14]
	v_add_f64 v[91:92], v[3:4], -v[15:16]
	s_delay_alu instid0(VALU_DEP_2) | instskip(NEXT) | instid1(VALU_DEP_2)
	;; [unrolled: 7-line block ×8, first 2 shown]
	v_fma_f64 v[45:46], v[1:2], 2.0, -v[41:42]
	v_fma_f64 v[47:48], v[3:4], 2.0, -v[43:44]
	ds_load_b128 v[1:4], v254 offset:18432
	s_waitcnt lgkmcnt(0)
	v_add_f64 v[33:34], v[1:2], -v[160:161]
	v_add_f64 v[35:36], v[3:4], -v[162:163]
	ds_load_b128 v[160:163], v254 offset:28672
	v_fma_f64 v[37:38], v[1:2], 2.0, -v[33:34]
	v_fma_f64 v[39:40], v[3:4], 2.0, -v[35:36]
	ds_load_b128 v[1:4], v254 offset:20480
	s_waitcnt lgkmcnt(0)
	v_add_f64 v[25:26], v[1:2], -v[164:165]
	v_add_f64 v[27:28], v[3:4], -v[166:167]
	;; [unrolled: 1-line block ×4, first 2 shown]
	s_delay_alu instid0(VALU_DEP_4) | instskip(NEXT) | instid1(VALU_DEP_4)
	v_fma_f64 v[29:30], v[1:2], 2.0, -v[25:26]
	v_fma_f64 v[31:32], v[3:4], 2.0, -v[27:28]
	ds_load_b128 v[1:4], v254 offset:22528
	v_fma_f64 v[116:117], v[160:161], 2.0, -v[164:165]
	v_fma_f64 v[118:119], v[162:163], 2.0, -v[166:167]
	s_waitcnt lgkmcnt(0)
	v_add_f64 v[17:18], v[1:2], -v[168:169]
	v_add_f64 v[19:20], v[3:4], -v[170:171]
	s_delay_alu instid0(VALU_DEP_2) | instskip(NEXT) | instid1(VALU_DEP_2)
	v_fma_f64 v[21:22], v[1:2], 2.0, -v[17:18]
	v_fma_f64 v[23:24], v[3:4], 2.0, -v[19:20]
	ds_load_b128 v[1:4], v254 offset:24576
	s_waitcnt lgkmcnt(0)
	s_waitcnt_vscnt null, 0x0
	s_barrier
	buffer_gl0_inv
	ds_store_b128 v0, v[105:108] offset:960
	ds_store_b128 v0, v[109:112]
	v_and_b32_e32 v0, 0xffff, v144
	v_lshrrev_b32_e32 v144, 17, v128
	s_delay_alu instid0(VALU_DEP_2) | instskip(NEXT) | instid1(VALU_DEP_1)
	v_mul_u32_u24_e32 v0, 0x78, v0
	v_add_lshl_u32 v0, v0, v149, 4
	scratch_store_b32 off, v0, off offset:1260 ; 4-byte Folded Spill
	ds_store_b128 v0, v[101:104]
	ds_store_b128 v0, v[97:100] offset:960
	v_mad_u16 v0, 0x78, v156, v159
	v_add_f64 v[9:10], v[1:2], -v[173:174]
	v_add_f64 v[11:12], v[3:4], -v[175:176]
	s_delay_alu instid0(VALU_DEP_3) | instskip(NEXT) | instid1(VALU_DEP_1)
	v_and_b32_e32 v0, 0xffff, v0
	v_lshlrev_b32_e32 v0, 4, v0
	scratch_store_b32 off, v0, off offset:1256 ; 4-byte Folded Spill
	ds_store_b128 v0, v[93:96]
	ds_store_b128 v0, v[89:92] offset:960
	v_mad_u16 v0, 0x78, v154, v158
	v_lshrrev_b32_e32 v154, 16, v131
	s_delay_alu instid0(VALU_DEP_2) | instskip(NEXT) | instid1(VALU_DEP_1)
	v_and_b32_e32 v0, 0xffff, v0
	v_lshlrev_b32_e32 v0, 4, v0
	scratch_store_b32 off, v0, off offset:1252 ; 4-byte Folded Spill
	ds_store_b128 v0, v[85:88]
	ds_store_b128 v0, v[81:84] offset:960
	v_mad_u16 v0, 0x78, v152, v157
	s_delay_alu instid0(VALU_DEP_1)
	v_and_b32_e32 v0, 0xffff, v0
	v_fma_f64 v[13:14], v[1:2], 2.0, -v[9:10]
	v_fma_f64 v[15:16], v[3:4], 2.0, -v[11:12]
	v_add_f64 v[1:2], v[5:6], -v[177:178]
	v_add_f64 v[3:4], v[7:8], -v[179:180]
	v_lshlrev_b32_e32 v0, 4, v0
	scratch_store_b32 off, v0, off offset:1248 ; 4-byte Folded Spill
	ds_store_b128 v0, v[77:80]
	ds_store_b128 v0, v[73:76] offset:960
	v_mad_u16 v0, 0x78, v150, v155
	v_lshrrev_b16 v150, 14, v114
	v_lshrrev_b32_e32 v114, 18, v121
	s_delay_alu instid0(VALU_DEP_3) | instskip(NEXT) | instid1(VALU_DEP_1)
	v_and_b32_e32 v0, 0xffff, v0
	v_lshlrev_b32_e32 v0, 4, v0
	scratch_store_b32 off, v0, off offset:1240 ; 4-byte Folded Spill
	ds_store_b128 v0, v[69:72]
	ds_store_b128 v0, v[65:68] offset:960
	v_mad_u16 v0, 0x78, v147, v153
	s_delay_alu instid0(VALU_DEP_1) | instskip(NEXT) | instid1(VALU_DEP_1)
	v_and_b32_e32 v0, 0xffff, v0
	v_lshlrev_b32_e32 v0, 4, v0
	v_fma_f64 v[5:6], v[5:6], 2.0, -v[1:2]
	v_fma_f64 v[7:8], v[7:8], 2.0, -v[3:4]
	scratch_store_b32 off, v0, off offset:1236 ; 4-byte Folded Spill
	ds_store_b128 v0, v[61:64]
	ds_store_b128 v0, v[57:60] offset:960
	v_mad_u16 v0, 0x78, v145, v151
	v_lshrrev_b32_e32 v151, 17, v120
	s_delay_alu instid0(VALU_DEP_2) | instskip(NEXT) | instid1(VALU_DEP_1)
	v_and_b32_e32 v0, 0xffff, v0
	v_lshlrev_b32_e32 v0, 4, v0
	scratch_store_b32 off, v0, off offset:1232 ; 4-byte Folded Spill
	ds_store_b128 v0, v[53:56]
	ds_store_b128 v0, v[49:52] offset:960
	v_mad_u16 v0, 0x78, v142, v148
	v_lshrrev_b32_e32 v148, 17, v129
	v_lshrrev_b32_e32 v142, 18, v127
	s_delay_alu instid0(VALU_DEP_3) | instskip(NEXT) | instid1(VALU_DEP_1)
	v_and_b32_e32 v0, 0xffff, v0
	v_lshlrev_b32_e32 v0, 4, v0
	scratch_store_b32 off, v0, off offset:1228 ; 4-byte Folded Spill
	ds_store_b128 v0, v[45:48]
	ds_store_b128 v0, v[41:44] offset:960
	v_mad_u16 v0, 0x78, v140, v146
	v_lshrrev_b32_e32 v146, 17, v130
	v_lshrrev_b32_e32 v140, 18, v126
	s_delay_alu instid0(VALU_DEP_3) | instskip(NEXT) | instid1(VALU_DEP_1)
	v_and_b32_e32 v0, 0xffff, v0
	v_lshlrev_b32_e32 v0, 4, v0
	scratch_store_b32 off, v0, off offset:1224 ; 4-byte Folded Spill
	ds_store_b128 v0, v[37:40]
	ds_store_b128 v0, v[33:36] offset:960
	v_mad_u16 v0, 0x78, v138, v143
	v_lshrrev_b32_e32 v138, 18, v125
	s_delay_alu instid0(VALU_DEP_2) | instskip(NEXT) | instid1(VALU_DEP_1)
	v_and_b32_e32 v0, 0xffff, v0
	v_lshlrev_b32_e32 v0, 4, v0
	scratch_store_b32 off, v0, off offset:1220 ; 4-byte Folded Spill
	ds_store_b128 v0, v[29:32]
	ds_store_b128 v0, v[25:28] offset:960
	v_mad_u16 v0, 0x78, v136, v141
	v_lshrrev_b32_e32 v136, 18, v124
	s_delay_alu instid0(VALU_DEP_2) | instskip(NEXT) | instid1(VALU_DEP_1)
	;; [unrolled: 8-line block ×3, first 2 shown]
	v_and_b32_e32 v0, 0xffff, v0
	v_lshlrev_b32_e32 v0, 4, v0
	scratch_store_b32 off, v0, off offset:1212 ; 4-byte Folded Spill
	ds_store_b128 v0, v[13:16]
	ds_store_b128 v0, v[9:12] offset:960
	v_mad_u16 v0, 0x78, v133, v137
	s_delay_alu instid0(VALU_DEP_1) | instskip(NEXT) | instid1(VALU_DEP_1)
	v_and_b32_e32 v0, 0xffff, v0
	v_lshlrev_b32_e32 v0, 4, v0
	scratch_store_b32 off, v0, off offset:1208 ; 4-byte Folded Spill
	ds_store_b128 v0, v[5:8]
	ds_store_b128 v0, v[1:4] offset:960
	v_mad_u16 v0, 0x78, v132, v135
	v_lshrrev_b32_e32 v132, 18, v122
	s_delay_alu instid0(VALU_DEP_2) | instskip(NEXT) | instid1(VALU_DEP_1)
	v_and_b32_e32 v0, 0xffff, v0
	v_lshlrev_b32_e32 v0, 4, v0
	scratch_store_b32 off, v0, off offset:1204 ; 4-byte Folded Spill
	ds_store_b128 v0, v[116:119]
	ds_store_b128 v0, v[164:167] offset:960
	v_add_co_u32 v0, s30, 0xffffff88, v253
	s_delay_alu instid0(VALU_DEP_1) | instskip(SKIP_2) | instid1(VALU_DEP_2)
	v_add_co_ci_u32_e64 v1, null, 0, -1, s30
	s_waitcnt lgkmcnt(0)
	s_waitcnt_vscnt null, 0x0
	v_cndmask_b32_e32 v0, v0, v253, vcc_lo
	s_barrier
	v_cndmask_b32_e64 v1, v1, 0, vcc_lo
	buffer_gl0_inv
	v_lshlrev_b64 v[1:2], 4, v[0:1]
	s_delay_alu instid0(VALU_DEP_1) | instskip(NEXT) | instid1(VALU_DEP_2)
	v_add_co_u32 v1, vcc_lo, s10, v1
	v_add_co_ci_u32_e32 v2, vcc_lo, s11, v2, vcc_lo
	v_cmp_lt_u32_e32 vcc_lo, 0x77, v253
	global_load_b128 v[7:10], v[1:2], off offset:1760
	ds_load_b128 v[1:4], v254 offset:30720
	s_waitcnt vmcnt(0) lgkmcnt(0)
	v_mul_f64 v[5:6], v[3:4], v[9:10]
	scratch_store_b128 off, v[7:10], off offset:1264 ; 16-byte Folded Spill
	v_fma_f64 v[5:6], v[1:2], v[7:8], -v[5:6]
	v_mul_f64 v[1:2], v[1:2], v[9:10]
	s_delay_alu instid0(VALU_DEP_1) | instskip(SKIP_1) | instid1(VALU_DEP_1)
	v_fma_f64 v[7:8], v[3:4], v[7:8], v[1:2]
	v_mul_lo_u16 v1, 0x78, v150
	v_sub_nc_u16 v1, v115, v1
	s_delay_alu instid0(VALU_DEP_1) | instskip(NEXT) | instid1(VALU_DEP_1)
	v_and_b32_e32 v153, 0xff, v1
	v_lshlrev_b32_e32 v1, 4, v153
	global_load_b128 v[11:14], v1, s[10:11] offset:1760
	ds_load_b128 v[1:4], v254 offset:32768
	s_waitcnt vmcnt(0) lgkmcnt(0)
	v_mul_f64 v[9:10], v[3:4], v[13:14]
	scratch_store_b128 off, v[11:14], off offset:1280 ; 16-byte Folded Spill
	v_fma_f64 v[9:10], v[1:2], v[11:12], -v[9:10]
	v_mul_f64 v[1:2], v[1:2], v[13:14]
	s_delay_alu instid0(VALU_DEP_1) | instskip(SKIP_1) | instid1(VALU_DEP_1)
	v_fma_f64 v[11:12], v[3:4], v[11:12], v[1:2]
	v_mul_u32_u24_e32 v1, 0x223, v201
	v_lshrrev_b32_e32 v156, 16, v1
	s_delay_alu instid0(VALU_DEP_1) | instskip(NEXT) | instid1(VALU_DEP_1)
	v_mul_lo_u16 v1, 0x78, v156
	v_sub_nc_u16 v158, v201, v1
	s_delay_alu instid0(VALU_DEP_1) | instskip(NEXT) | instid1(VALU_DEP_1)
	v_and_b32_e32 v1, 0xffff, v158
	v_lshlrev_b32_e32 v1, 4, v1
	global_load_b128 v[15:18], v1, s[10:11] offset:1760
	ds_load_b128 v[1:4], v254 offset:34816
	s_waitcnt vmcnt(0) lgkmcnt(0)
	v_mul_f64 v[13:14], v[3:4], v[17:18]
	scratch_store_b128 off, v[15:18], off offset:1296 ; 16-byte Folded Spill
	v_fma_f64 v[13:14], v[1:2], v[15:16], -v[13:14]
	v_mul_f64 v[1:2], v[1:2], v[17:18]
	s_delay_alu instid0(VALU_DEP_1) | instskip(SKIP_1) | instid1(VALU_DEP_1)
	v_fma_f64 v[15:16], v[3:4], v[15:16], v[1:2]
	v_mul_lo_u16 v1, 0x78, v154
	v_sub_nc_u16 v157, v113, v1
	s_delay_alu instid0(VALU_DEP_1) | instskip(NEXT) | instid1(VALU_DEP_1)
	v_and_b32_e32 v1, 0xffff, v157
	v_lshlrev_b32_e32 v1, 4, v1
	global_load_b128 v[19:22], v1, s[10:11] offset:1760
	ds_load_b128 v[1:4], v254 offset:36864
	s_waitcnt vmcnt(0) lgkmcnt(0)
	v_mul_f64 v[17:18], v[3:4], v[21:22]
	scratch_store_b128 off, v[19:22], off offset:1312 ; 16-byte Folded Spill
	v_fma_f64 v[17:18], v[1:2], v[19:20], -v[17:18]
	v_mul_f64 v[1:2], v[1:2], v[21:22]
	s_delay_alu instid0(VALU_DEP_1) | instskip(SKIP_1) | instid1(VALU_DEP_1)
	v_fma_f64 v[19:20], v[3:4], v[19:20], v[1:2]
	v_mul_lo_u16 v1, 0x78, v151
	v_sub_nc_u16 v155, v199, v1
	s_delay_alu instid0(VALU_DEP_1) | instskip(NEXT) | instid1(VALU_DEP_1)
	v_and_b32_e32 v1, 0xffff, v155
	v_lshlrev_b32_e32 v1, 4, v1
	global_load_b128 v[23:26], v1, s[10:11] offset:1760
	ds_load_b128 v[1:4], v254 offset:38912
	s_waitcnt vmcnt(0) lgkmcnt(0)
	v_mul_f64 v[21:22], v[3:4], v[25:26]
	scratch_store_b128 off, v[23:26], off offset:1328 ; 16-byte Folded Spill
	v_fma_f64 v[21:22], v[1:2], v[23:24], -v[21:22]
	v_mul_f64 v[1:2], v[1:2], v[25:26]
	s_delay_alu instid0(VALU_DEP_1) | instskip(SKIP_1) | instid1(VALU_DEP_1)
	v_fma_f64 v[23:24], v[3:4], v[23:24], v[1:2]
	v_mul_lo_u16 v1, 0x78, v148
	v_sub_nc_u16 v152, v200, v1
	s_delay_alu instid0(VALU_DEP_1) | instskip(NEXT) | instid1(VALU_DEP_1)
	v_and_b32_e32 v1, 0xffff, v152
	v_lshlrev_b32_e32 v1, 4, v1
	global_load_b128 v[27:30], v1, s[10:11] offset:1760
	ds_load_b128 v[1:4], v254 offset:40960
	s_waitcnt vmcnt(0) lgkmcnt(0)
	v_mul_f64 v[25:26], v[3:4], v[29:30]
	scratch_store_b128 off, v[27:30], off offset:1344 ; 16-byte Folded Spill
	v_fma_f64 v[25:26], v[1:2], v[27:28], -v[25:26]
	v_mul_f64 v[1:2], v[1:2], v[29:30]
	s_delay_alu instid0(VALU_DEP_1) | instskip(SKIP_1) | instid1(VALU_DEP_1)
	v_fma_f64 v[27:28], v[3:4], v[27:28], v[1:2]
	v_mul_lo_u16 v1, 0x78, v146
	v_sub_nc_u16 v149, v185, v1
	s_delay_alu instid0(VALU_DEP_1) | instskip(NEXT) | instid1(VALU_DEP_1)
	v_and_b32_e32 v1, 0xffff, v149
	v_lshlrev_b32_e32 v1, 4, v1
	global_load_b128 v[31:34], v1, s[10:11] offset:1760
	ds_load_b128 v[1:4], v254 offset:43008
	s_waitcnt vmcnt(0) lgkmcnt(0)
	v_mul_f64 v[29:30], v[3:4], v[33:34]
	scratch_store_b128 off, v[31:34], off offset:1360 ; 16-byte Folded Spill
	v_fma_f64 v[29:30], v[1:2], v[31:32], -v[29:30]
	v_mul_f64 v[1:2], v[1:2], v[33:34]
	s_delay_alu instid0(VALU_DEP_1) | instskip(SKIP_1) | instid1(VALU_DEP_1)
	v_fma_f64 v[31:32], v[3:4], v[31:32], v[1:2]
	v_mul_lo_u16 v1, 0x78, v144
	v_sub_nc_u16 v147, v172, v1
	s_delay_alu instid0(VALU_DEP_1) | instskip(NEXT) | instid1(VALU_DEP_1)
	v_and_b32_e32 v1, 0xffff, v147
	v_lshlrev_b32_e32 v1, 4, v1
	global_load_b128 v[35:38], v1, s[10:11] offset:1760
	ds_load_b128 v[1:4], v254 offset:45056
	s_waitcnt vmcnt(0) lgkmcnt(0)
	v_mul_f64 v[33:34], v[3:4], v[37:38]
	scratch_store_b128 off, v[35:38], off offset:1376 ; 16-byte Folded Spill
	v_fma_f64 v[33:34], v[1:2], v[35:36], -v[33:34]
	v_mul_f64 v[1:2], v[1:2], v[37:38]
	s_delay_alu instid0(VALU_DEP_1) | instskip(SKIP_1) | instid1(VALU_DEP_1)
	v_fma_f64 v[35:36], v[3:4], v[35:36], v[1:2]
	v_mul_lo_u16 v1, 0x78, v142
	v_sub_nc_u16 v145, v198, v1
	s_delay_alu instid0(VALU_DEP_1) | instskip(NEXT) | instid1(VALU_DEP_1)
	v_and_b32_e32 v1, 0xffff, v145
	v_lshlrev_b32_e32 v1, 4, v1
	global_load_b128 v[39:42], v1, s[10:11] offset:1760
	ds_load_b128 v[1:4], v254 offset:47104
	s_waitcnt vmcnt(0) lgkmcnt(0)
	v_mul_f64 v[37:38], v[3:4], v[41:42]
	scratch_store_b128 off, v[39:42], off offset:1392 ; 16-byte Folded Spill
	v_fma_f64 v[37:38], v[1:2], v[39:40], -v[37:38]
	v_mul_f64 v[1:2], v[1:2], v[41:42]
	s_delay_alu instid0(VALU_DEP_1) | instskip(SKIP_1) | instid1(VALU_DEP_1)
	v_fma_f64 v[39:40], v[3:4], v[39:40], v[1:2]
	v_mul_lo_u16 v1, 0x78, v140
	v_sub_nc_u16 v143, v182, v1
	s_delay_alu instid0(VALU_DEP_1) | instskip(NEXT) | instid1(VALU_DEP_1)
	v_and_b32_e32 v1, 0xffff, v143
	v_lshlrev_b32_e32 v1, 4, v1
	global_load_b128 v[43:46], v1, s[10:11] offset:1760
	ds_load_b128 v[1:4], v254 offset:49152
	s_waitcnt vmcnt(0)
	scratch_store_b128 off, v[43:46], off offset:1408 ; 16-byte Folded Spill
	s_waitcnt lgkmcnt(0)
	v_mul_f64 v[41:42], v[3:4], v[45:46]
	s_delay_alu instid0(VALU_DEP_1) | instskip(SKIP_1) | instid1(VALU_DEP_1)
	v_fma_f64 v[159:160], v[1:2], v[43:44], -v[41:42]
	v_mul_f64 v[1:2], v[1:2], v[45:46]
	v_fma_f64 v[161:162], v[3:4], v[43:44], v[1:2]
	v_mul_lo_u16 v1, 0x78, v138
	s_delay_alu instid0(VALU_DEP_1) | instskip(NEXT) | instid1(VALU_DEP_1)
	v_sub_nc_u16 v141, v183, v1
	v_and_b32_e32 v1, 0xffff, v141
	s_delay_alu instid0(VALU_DEP_1)
	v_lshlrev_b32_e32 v1, 4, v1
	global_load_b128 v[43:46], v1, s[10:11] offset:1760
	ds_load_b128 v[1:4], v254 offset:51200
	s_waitcnt vmcnt(0) lgkmcnt(0)
	v_mul_f64 v[41:42], v[3:4], v[45:46]
	scratch_store_b128 off, v[43:46], off offset:1424 ; 16-byte Folded Spill
	v_fma_f64 v[163:164], v[1:2], v[43:44], -v[41:42]
	v_mul_f64 v[1:2], v[1:2], v[45:46]
	s_delay_alu instid0(VALU_DEP_1) | instskip(SKIP_1) | instid1(VALU_DEP_1)
	v_fma_f64 v[165:166], v[3:4], v[43:44], v[1:2]
	v_mul_lo_u16 v1, 0x78, v136
	v_sub_nc_u16 v139, v197, v1
	s_delay_alu instid0(VALU_DEP_1) | instskip(NEXT) | instid1(VALU_DEP_1)
	v_and_b32_e32 v1, 0xffff, v139
	v_lshlrev_b32_e32 v1, 4, v1
	global_load_b128 v[43:46], v1, s[10:11] offset:1760
	ds_load_b128 v[1:4], v254 offset:53248
	s_waitcnt vmcnt(0)
	scratch_store_b128 off, v[43:46], off offset:1440 ; 16-byte Folded Spill
	s_waitcnt lgkmcnt(0)
	v_mul_f64 v[41:42], v[3:4], v[45:46]
	s_delay_alu instid0(VALU_DEP_1) | instskip(SKIP_1) | instid1(VALU_DEP_1)
	v_fma_f64 v[167:168], v[1:2], v[43:44], -v[41:42]
	v_mul_f64 v[1:2], v[1:2], v[45:46]
	v_fma_f64 v[169:170], v[3:4], v[43:44], v[1:2]
	v_mul_lo_u16 v1, 0x78, v134
	s_delay_alu instid0(VALU_DEP_1) | instskip(NEXT) | instid1(VALU_DEP_1)
	v_sub_nc_u16 v137, v181, v1
	v_and_b32_e32 v1, 0xffff, v137
	s_delay_alu instid0(VALU_DEP_1)
	v_lshlrev_b32_e32 v1, 4, v1
	global_load_b128 v[43:46], v1, s[10:11] offset:1760
	ds_load_b128 v[1:4], v254 offset:55296
	s_waitcnt vmcnt(0) lgkmcnt(0)
	v_mul_f64 v[41:42], v[3:4], v[45:46]
	scratch_store_b128 off, v[43:46], off offset:1456 ; 16-byte Folded Spill
	v_fma_f64 v[173:174], v[1:2], v[43:44], -v[41:42]
	v_mul_f64 v[1:2], v[1:2], v[45:46]
	s_delay_alu instid0(VALU_DEP_1) | instskip(SKIP_1) | instid1(VALU_DEP_1)
	v_fma_f64 v[175:176], v[3:4], v[43:44], v[1:2]
	v_mul_lo_u16 v1, 0x78, v132
	v_sub_nc_u16 v135, v184, v1
	s_delay_alu instid0(VALU_DEP_1) | instskip(NEXT) | instid1(VALU_DEP_1)
	v_and_b32_e32 v1, 0xffff, v135
	v_lshlrev_b32_e32 v1, 4, v1
	global_load_b128 v[43:46], v1, s[10:11] offset:1760
	ds_load_b128 v[1:4], v254 offset:57344
	s_waitcnt vmcnt(0)
	scratch_store_b128 off, v[43:46], off offset:1472 ; 16-byte Folded Spill
	s_waitcnt lgkmcnt(0)
	v_mul_f64 v[41:42], v[3:4], v[45:46]
	s_delay_alu instid0(VALU_DEP_1) | instskip(SKIP_1) | instid1(VALU_DEP_1)
	v_fma_f64 v[177:178], v[1:2], v[43:44], -v[41:42]
	v_mul_f64 v[1:2], v[1:2], v[45:46]
	v_fma_f64 v[179:180], v[3:4], v[43:44], v[1:2]
	v_mul_lo_u16 v1, 0x78, v114
	s_delay_alu instid0(VALU_DEP_1) | instskip(NEXT) | instid1(VALU_DEP_1)
	v_sub_nc_u16 v133, v252, v1
	v_and_b32_e32 v1, 0xffff, v133
	s_delay_alu instid0(VALU_DEP_1)
	v_lshlrev_b32_e32 v1, 4, v1
	global_load_b128 v[43:46], v1, s[10:11] offset:1760
	ds_load_b128 v[1:4], v254 offset:59392
	s_waitcnt vmcnt(0) lgkmcnt(0)
	v_mul_f64 v[41:42], v[3:4], v[45:46]
	scratch_store_b128 off, v[43:46], off offset:1488 ; 16-byte Folded Spill
	v_fma_f64 v[118:119], v[1:2], v[43:44], -v[41:42]
	v_mul_f64 v[1:2], v[1:2], v[45:46]
	s_delay_alu instid0(VALU_DEP_1)
	v_fma_f64 v[116:117], v[3:4], v[43:44], v[1:2]
	ds_load_b128 v[1:4], v254
	s_waitcnt lgkmcnt(0)
	v_add_f64 v[105:106], v[1:2], -v[5:6]
	v_add_f64 v[107:108], v[3:4], -v[7:8]
	ds_load_b128 v[5:8], v254 offset:26624
	v_fma_f64 v[109:110], v[1:2], 2.0, -v[105:106]
	v_fma_f64 v[111:112], v[3:4], 2.0, -v[107:108]
	ds_load_b128 v[1:4], v254 offset:2048
	s_waitcnt lgkmcnt(0)
	v_add_f64 v[97:98], v[1:2], -v[9:10]
	v_add_f64 v[99:100], v[3:4], -v[11:12]
	s_delay_alu instid0(VALU_DEP_2) | instskip(NEXT) | instid1(VALU_DEP_2)
	v_fma_f64 v[101:102], v[1:2], 2.0, -v[97:98]
	v_fma_f64 v[103:104], v[3:4], 2.0, -v[99:100]
	ds_load_b128 v[1:4], v254 offset:4096
	s_waitcnt lgkmcnt(0)
	v_add_f64 v[89:90], v[1:2], -v[13:14]
	v_add_f64 v[91:92], v[3:4], -v[15:16]
	s_delay_alu instid0(VALU_DEP_2) | instskip(NEXT) | instid1(VALU_DEP_2)
	;; [unrolled: 7-line block ×8, first 2 shown]
	v_fma_f64 v[45:46], v[1:2], 2.0, -v[41:42]
	v_fma_f64 v[47:48], v[3:4], 2.0, -v[43:44]
	ds_load_b128 v[1:4], v254 offset:18432
	s_waitcnt lgkmcnt(0)
	v_add_f64 v[33:34], v[1:2], -v[159:160]
	v_add_f64 v[35:36], v[3:4], -v[161:162]
	ds_load_b128 v[159:162], v254 offset:28672
	v_fma_f64 v[37:38], v[1:2], 2.0, -v[33:34]
	v_fma_f64 v[39:40], v[3:4], 2.0, -v[35:36]
	ds_load_b128 v[1:4], v254 offset:20480
	s_waitcnt lgkmcnt(0)
	v_add_f64 v[25:26], v[1:2], -v[163:164]
	v_add_f64 v[27:28], v[3:4], -v[165:166]
	;; [unrolled: 1-line block ×4, first 2 shown]
	s_delay_alu instid0(VALU_DEP_4) | instskip(NEXT) | instid1(VALU_DEP_4)
	v_fma_f64 v[29:30], v[1:2], 2.0, -v[25:26]
	v_fma_f64 v[31:32], v[3:4], 2.0, -v[27:28]
	ds_load_b128 v[1:4], v254 offset:22528
	v_fma_f64 v[116:117], v[159:160], 2.0, -v[163:164]
	v_cndmask_b32_e64 v159, 0, 0xf0, vcc_lo
	v_fma_f64 v[118:119], v[161:162], 2.0, -v[165:166]
	s_delay_alu instid0(VALU_DEP_2) | instskip(SKIP_4) | instid1(VALU_DEP_2)
	v_add_lshl_u32 v0, v0, v159, 4
	scratch_store_b32 off, v0, off offset:1544 ; 4-byte Folded Spill
	s_waitcnt lgkmcnt(0)
	v_add_f64 v[17:18], v[1:2], -v[167:168]
	v_add_f64 v[19:20], v[3:4], -v[169:170]
	v_fma_f64 v[21:22], v[1:2], 2.0, -v[17:18]
	s_delay_alu instid0(VALU_DEP_2)
	v_fma_f64 v[23:24], v[3:4], 2.0, -v[19:20]
	ds_load_b128 v[1:4], v254 offset:24576
	s_waitcnt lgkmcnt(0)
	s_waitcnt_vscnt null, 0x0
	s_barrier
	buffer_gl0_inv
	ds_store_b128 v0, v[105:108] offset:1920
	ds_store_b128 v0, v[109:112]
	v_and_b32_e32 v0, 0xffff, v150
	s_delay_alu instid0(VALU_DEP_1) | instskip(NEXT) | instid1(VALU_DEP_1)
	v_mul_u32_u24_e32 v0, 0xf0, v0
	v_add_lshl_u32 v0, v0, v153, 4
	scratch_store_b32 off, v0, off offset:1560 ; 4-byte Folded Spill
	ds_store_b128 v0, v[101:104]
	ds_store_b128 v0, v[97:100] offset:1920
	v_mad_u16 v0, 0xf0, v156, v158
	v_add_f64 v[9:10], v[1:2], -v[173:174]
	v_add_f64 v[11:12], v[3:4], -v[175:176]
	s_delay_alu instid0(VALU_DEP_3) | instskip(NEXT) | instid1(VALU_DEP_1)
	v_and_b32_e32 v0, 0xffff, v0
	v_lshlrev_b32_e32 v0, 4, v0
	scratch_store_b32 off, v0, off offset:1556 ; 4-byte Folded Spill
	ds_store_b128 v0, v[93:96]
	ds_store_b128 v0, v[89:92] offset:1920
	v_mad_u16 v0, 0xf0, v154, v157
	s_delay_alu instid0(VALU_DEP_1) | instskip(NEXT) | instid1(VALU_DEP_1)
	v_and_b32_e32 v0, 0xffff, v0
	v_lshlrev_b32_e32 v0, 4, v0
	scratch_store_b32 off, v0, off offset:1552 ; 4-byte Folded Spill
	ds_store_b128 v0, v[85:88]
	ds_store_b128 v0, v[81:84] offset:1920
	v_mad_u16 v0, 0xf0, v151, v155
	s_delay_alu instid0(VALU_DEP_1)
	v_and_b32_e32 v0, 0xffff, v0
	v_fma_f64 v[13:14], v[1:2], 2.0, -v[9:10]
	v_fma_f64 v[15:16], v[3:4], 2.0, -v[11:12]
	v_add_f64 v[1:2], v[5:6], -v[177:178]
	v_add_f64 v[3:4], v[7:8], -v[179:180]
	v_lshlrev_b32_e32 v0, 4, v0
	scratch_store_b32 off, v0, off offset:1548 ; 4-byte Folded Spill
	ds_store_b128 v0, v[77:80]
	ds_store_b128 v0, v[73:76] offset:1920
	v_mad_u16 v0, 0xf0, v148, v152
	s_delay_alu instid0(VALU_DEP_1) | instskip(NEXT) | instid1(VALU_DEP_1)
	v_and_b32_e32 v0, 0xffff, v0
	v_lshlrev_b32_e32 v0, 4, v0
	scratch_store_b32 off, v0, off offset:1540 ; 4-byte Folded Spill
	ds_store_b128 v0, v[69:72]
	ds_store_b128 v0, v[65:68] offset:1920
	v_mad_u16 v0, 0xf0, v146, v149
	s_delay_alu instid0(VALU_DEP_1) | instskip(NEXT) | instid1(VALU_DEP_1)
	v_and_b32_e32 v0, 0xffff, v0
	v_lshlrev_b32_e32 v0, 4, v0
	v_fma_f64 v[5:6], v[5:6], 2.0, -v[1:2]
	v_fma_f64 v[7:8], v[7:8], 2.0, -v[3:4]
	scratch_store_b32 off, v0, off offset:1536 ; 4-byte Folded Spill
	ds_store_b128 v0, v[61:64]
	ds_store_b128 v0, v[57:60] offset:1920
	v_mad_u16 v0, 0xf0, v144, v147
	s_delay_alu instid0(VALU_DEP_1) | instskip(NEXT) | instid1(VALU_DEP_1)
	v_and_b32_e32 v0, 0xffff, v0
	v_lshlrev_b32_e32 v0, 4, v0
	scratch_store_b32 off, v0, off offset:1532 ; 4-byte Folded Spill
	ds_store_b128 v0, v[53:56]
	ds_store_b128 v0, v[49:52] offset:1920
	v_mad_u16 v0, 0xf0, v142, v145
	s_delay_alu instid0(VALU_DEP_1) | instskip(NEXT) | instid1(VALU_DEP_1)
	v_and_b32_e32 v0, 0xffff, v0
	v_lshlrev_b32_e32 v0, 4, v0
	;; [unrolled: 7-line block ×5, first 2 shown]
	scratch_store_b32 off, v0, off offset:1516 ; 4-byte Folded Spill
	ds_store_b128 v0, v[21:24]
	ds_store_b128 v0, v[17:20] offset:1920
	v_mad_u16 v0, 0xf0, v134, v137
	v_lshrrev_b32_e32 v137, 17, v131
	v_lshrrev_b32_e32 v131, 19, v126
	s_delay_alu instid0(VALU_DEP_3) | instskip(NEXT) | instid1(VALU_DEP_1)
	v_and_b32_e32 v0, 0xffff, v0
	v_lshlrev_b32_e32 v0, 4, v0
	scratch_store_b32 off, v0, off offset:1512 ; 4-byte Folded Spill
	ds_store_b128 v0, v[13:16]
	ds_store_b128 v0, v[9:12] offset:1920
	v_mad_u16 v0, 0xf0, v132, v135
	v_lshrrev_b32_e32 v135, 18, v129
	v_lshrrev_b32_e32 v129, 19, v122
	s_delay_alu instid0(VALU_DEP_3) | instskip(NEXT) | instid1(VALU_DEP_1)
	v_and_b32_e32 v0, 0xffff, v0
	v_lshlrev_b32_e32 v0, 4, v0
	scratch_store_b32 off, v0, off offset:1508 ; 4-byte Folded Spill
	ds_store_b128 v0, v[5:8]
	ds_store_b128 v0, v[1:4] offset:1920
	v_mad_u16 v0, 0xf0, v114, v133
	v_mov_b32_e32 v114, 0
	v_lshrrev_b32_e32 v133, 18, v128
	s_delay_alu instid0(VALU_DEP_2) | instskip(NEXT) | instid1(VALU_DEP_1)
	v_dual_mov_b32 v173, v114 :: v_dual_and_b32 v0, 0xffff, v0
	v_lshlrev_b32_e32 v0, 4, v0
	scratch_store_b32 off, v0, off offset:1504 ; 4-byte Folded Spill
	ds_store_b128 v0, v[116:119]
	ds_store_b128 v0, v[163:166] offset:1920
	s_waitcnt lgkmcnt(0)
	s_waitcnt_vscnt null, 0x0
	s_barrier
	buffer_gl0_inv
	global_load_b128 v[7:10], v254, s[10:11] offset:3680
	ds_load_b128 v[0:3], v254 offset:30720
	v_mov_b32_e32 v116, v114
	global_load_b128 v[15:18], v254, s[10:11] offset:3936
	v_cmp_gt_u64_e32 vcc_lo, 0xf0, v[115:116]
	s_waitcnt vmcnt(1) lgkmcnt(0)
	v_mul_f64 v[4:5], v[2:3], v[9:10]
	scratch_store_b128 off, v[7:10], off offset:1564 ; 16-byte Folded Spill
	s_waitcnt vmcnt(0)
	scratch_store_b128 off, v[15:18], off offset:1596 ; 16-byte Folded Spill
	v_fma_f64 v[5:6], v[0:1], v[7:8], -v[4:5]
	v_mul_f64 v[0:1], v[0:1], v[9:10]
	s_delay_alu instid0(VALU_DEP_1) | instskip(SKIP_1) | instid1(VALU_DEP_1)
	v_fma_f64 v[7:8], v[2:3], v[7:8], v[0:1]
	v_add_co_u32 v0, s30, 0xffffff90, v253
	v_add_co_ci_u32_e64 v1, null, 0, -1, s30
	v_add_co_u32 v170, s30, s10, v254
	s_delay_alu instid0(VALU_DEP_3) | instskip(NEXT) | instid1(VALU_DEP_3)
	v_cndmask_b32_e32 v0, v0, v115, vcc_lo
	v_cndmask_b32_e64 v1, v1, 0, vcc_lo
	v_add_co_ci_u32_e64 v171, null, s11, 0, s30
	s_delay_alu instid0(VALU_DEP_2) | instskip(NEXT) | instid1(VALU_DEP_1)
	v_lshlrev_b64 v[1:2], 4, v[0:1]
	v_add_co_u32 v1, vcc_lo, s10, v1
	s_delay_alu instid0(VALU_DEP_2)
	v_add_co_ci_u32_e32 v2, vcc_lo, s11, v2, vcc_lo
	v_cmp_lt_u64_e32 vcc_lo, 0xef, v[115:116]
	global_load_b128 v[11:14], v[1:2], off offset:3680
	ds_load_b128 v[1:4], v254 offset:32768
	s_waitcnt vmcnt(0) lgkmcnt(0)
	v_mul_f64 v[9:10], v[3:4], v[13:14]
	scratch_store_b128 off, v[11:14], off offset:1580 ; 16-byte Folded Spill
	v_fma_f64 v[9:10], v[1:2], v[11:12], -v[9:10]
	v_mul_f64 v[1:2], v[1:2], v[13:14]
	s_delay_alu instid0(VALU_DEP_1) | instskip(SKIP_3) | instid1(VALU_DEP_1)
	v_fma_f64 v[11:12], v[3:4], v[11:12], v[1:2]
	ds_load_b128 v[1:4], v254 offset:34816
	s_waitcnt lgkmcnt(0)
	v_mul_f64 v[13:14], v[3:4], v[17:18]
	v_fma_f64 v[13:14], v[1:2], v[15:16], -v[13:14]
	v_mul_f64 v[1:2], v[1:2], v[17:18]
	s_delay_alu instid0(VALU_DEP_1) | instskip(SKIP_1) | instid1(VALU_DEP_1)
	v_fma_f64 v[15:16], v[3:4], v[15:16], v[1:2]
	v_mul_lo_u16 v1, 0xf0, v137
	v_sub_nc_u16 v140, v113, v1
	s_delay_alu instid0(VALU_DEP_1) | instskip(NEXT) | instid1(VALU_DEP_1)
	v_and_b32_e32 v1, 0xffff, v140
	v_lshlrev_b32_e32 v1, 4, v1
	global_load_b128 v[19:22], v1, s[10:11] offset:3680
	ds_load_b128 v[1:4], v254 offset:36864
	s_waitcnt vmcnt(0) lgkmcnt(0)
	v_mul_f64 v[17:18], v[3:4], v[21:22]
	scratch_store_b128 off, v[19:22], off offset:1612 ; 16-byte Folded Spill
	v_fma_f64 v[17:18], v[1:2], v[19:20], -v[17:18]
	v_mul_f64 v[1:2], v[1:2], v[21:22]
	s_delay_alu instid0(VALU_DEP_1) | instskip(SKIP_1) | instid1(VALU_DEP_1)
	v_fma_f64 v[19:20], v[3:4], v[19:20], v[1:2]
	v_lshrrev_b32_e32 v1, 18, v120
	v_mul_lo_u16 v1, 0xf0, v1
	s_delay_alu instid0(VALU_DEP_1) | instskip(NEXT) | instid1(VALU_DEP_1)
	v_sub_nc_u16 v1, v199, v1
	v_and_b32_e32 v1, 0xffff, v1
	s_delay_alu instid0(VALU_DEP_1)
	v_lshlrev_b32_e32 v166, 4, v1
	ds_load_b128 v[1:4], v254 offset:38912
	global_load_b128 v[23:26], v166, s[10:11] offset:3680
	s_waitcnt vmcnt(0) lgkmcnt(0)
	v_mul_f64 v[21:22], v[3:4], v[25:26]
	scratch_store_b128 off, v[23:26], off offset:1628 ; 16-byte Folded Spill
	v_fma_f64 v[21:22], v[1:2], v[23:24], -v[21:22]
	v_mul_f64 v[1:2], v[1:2], v[25:26]
	s_delay_alu instid0(VALU_DEP_1) | instskip(SKIP_1) | instid1(VALU_DEP_1)
	v_fma_f64 v[23:24], v[3:4], v[23:24], v[1:2]
	v_mul_lo_u16 v1, 0xf0, v135
	v_sub_nc_u16 v139, v200, v1
	s_delay_alu instid0(VALU_DEP_1) | instskip(NEXT) | instid1(VALU_DEP_1)
	v_and_b32_e32 v1, 0xffff, v139
	v_lshlrev_b32_e32 v1, 4, v1
	global_load_b128 v[27:30], v1, s[10:11] offset:3680
	ds_load_b128 v[1:4], v254 offset:40960
	s_waitcnt vmcnt(0)
	scratch_store_b128 off, v[27:30], off offset:1644 ; 16-byte Folded Spill
	s_waitcnt lgkmcnt(0)
	v_mul_f64 v[25:26], v[3:4], v[29:30]
	s_delay_alu instid0(VALU_DEP_1) | instskip(SKIP_1) | instid1(VALU_DEP_1)
	v_fma_f64 v[25:26], v[1:2], v[27:28], -v[25:26]
	v_mul_f64 v[1:2], v[1:2], v[29:30]
	v_fma_f64 v[27:28], v[3:4], v[27:28], v[1:2]
	v_lshrrev_b32_e32 v1, 18, v130
	v_lshrrev_b32_e32 v130, 19, v124
	v_lshrrev_b32_e32 v124, 20, v124
	s_delay_alu instid0(VALU_DEP_3) | instskip(NEXT) | instid1(VALU_DEP_1)
	v_mul_lo_u16 v1, 0xf0, v1
	v_sub_nc_u16 v1, v185, v1
	s_delay_alu instid0(VALU_DEP_1) | instskip(NEXT) | instid1(VALU_DEP_1)
	v_and_b32_e32 v1, 0xffff, v1
	v_lshlrev_b32_e32 v165, 4, v1
	ds_load_b128 v[1:4], v254 offset:43008
	global_load_b128 v[31:34], v165, s[10:11] offset:3680
	s_waitcnt vmcnt(0) lgkmcnt(0)
	v_mul_f64 v[29:30], v[3:4], v[33:34]
	scratch_store_b128 off, v[31:34], off offset:1660 ; 16-byte Folded Spill
	v_fma_f64 v[29:30], v[1:2], v[31:32], -v[29:30]
	v_mul_f64 v[1:2], v[1:2], v[33:34]
	s_delay_alu instid0(VALU_DEP_1) | instskip(SKIP_1) | instid1(VALU_DEP_1)
	v_fma_f64 v[31:32], v[3:4], v[31:32], v[1:2]
	v_mul_lo_u16 v1, 0xf0, v133
	v_sub_nc_u16 v138, v172, v1
	s_delay_alu instid0(VALU_DEP_1) | instskip(NEXT) | instid1(VALU_DEP_1)
	v_and_b32_e32 v1, 0xffff, v138
	v_lshlrev_b32_e32 v1, 4, v1
	global_load_b128 v[35:38], v1, s[10:11] offset:3680
	ds_load_b128 v[1:4], v254 offset:45056
	s_waitcnt vmcnt(0) lgkmcnt(0)
	v_mul_f64 v[33:34], v[3:4], v[37:38]
	scratch_store_b128 off, v[35:38], off offset:1676 ; 16-byte Folded Spill
	v_fma_f64 v[33:34], v[1:2], v[35:36], -v[33:34]
	v_mul_f64 v[1:2], v[1:2], v[37:38]
	s_delay_alu instid0(VALU_DEP_1) | instskip(SKIP_1) | instid1(VALU_DEP_1)
	v_fma_f64 v[35:36], v[3:4], v[35:36], v[1:2]
	v_lshrrev_b32_e32 v1, 19, v127
	v_mul_lo_u16 v1, 0xf0, v1
	s_delay_alu instid0(VALU_DEP_1) | instskip(NEXT) | instid1(VALU_DEP_1)
	v_sub_nc_u16 v1, v198, v1
	v_and_b32_e32 v1, 0xffff, v1
	s_delay_alu instid0(VALU_DEP_1)
	v_lshlrev_b32_e32 v164, 4, v1
	ds_load_b128 v[1:4], v254 offset:47104
	global_load_b128 v[39:42], v164, s[10:11] offset:3680
	s_waitcnt vmcnt(0) lgkmcnt(0)
	v_mul_f64 v[37:38], v[3:4], v[41:42]
	scratch_store_b128 off, v[39:42], off offset:1692 ; 16-byte Folded Spill
	v_fma_f64 v[37:38], v[1:2], v[39:40], -v[37:38]
	v_mul_f64 v[1:2], v[1:2], v[41:42]
	s_delay_alu instid0(VALU_DEP_1) | instskip(SKIP_1) | instid1(VALU_DEP_1)
	v_fma_f64 v[39:40], v[3:4], v[39:40], v[1:2]
	v_mul_lo_u16 v1, 0xf0, v131
	v_sub_nc_u16 v136, v182, v1
	s_delay_alu instid0(VALU_DEP_1) | instskip(NEXT) | instid1(VALU_DEP_1)
	v_and_b32_e32 v1, 0xffff, v136
	v_lshlrev_b32_e32 v1, 4, v1
	global_load_b128 v[43:46], v1, s[10:11] offset:3680
	ds_load_b128 v[1:4], v254 offset:49152
	s_waitcnt vmcnt(0)
	scratch_store_b128 off, v[43:46], off offset:1708 ; 16-byte Folded Spill
	s_waitcnt lgkmcnt(0)
	v_mul_f64 v[41:42], v[3:4], v[45:46]
	s_delay_alu instid0(VALU_DEP_1) | instskip(SKIP_1) | instid1(VALU_DEP_1)
	v_fma_f64 v[141:142], v[1:2], v[43:44], -v[41:42]
	v_mul_f64 v[1:2], v[1:2], v[45:46]
	v_fma_f64 v[143:144], v[3:4], v[43:44], v[1:2]
	v_lshrrev_b32_e32 v1, 19, v125
	s_delay_alu instid0(VALU_DEP_1) | instskip(NEXT) | instid1(VALU_DEP_1)
	v_mul_lo_u16 v1, 0xf0, v1
	v_sub_nc_u16 v1, v183, v1
	s_delay_alu instid0(VALU_DEP_1) | instskip(NEXT) | instid1(VALU_DEP_1)
	v_and_b32_e32 v1, 0xffff, v1
	v_lshlrev_b32_e32 v163, 4, v1
	ds_load_b128 v[1:4], v254 offset:51200
	global_load_b128 v[43:46], v163, s[10:11] offset:3680
	s_waitcnt vmcnt(0) lgkmcnt(0)
	v_mul_f64 v[41:42], v[3:4], v[45:46]
	scratch_store_b128 off, v[43:46], off offset:1724 ; 16-byte Folded Spill
	v_fma_f64 v[145:146], v[1:2], v[43:44], -v[41:42]
	v_mul_f64 v[1:2], v[1:2], v[45:46]
	s_delay_alu instid0(VALU_DEP_1) | instskip(SKIP_1) | instid1(VALU_DEP_1)
	v_fma_f64 v[147:148], v[3:4], v[43:44], v[1:2]
	v_mul_lo_u16 v1, 0xf0, v130
	v_sub_nc_u16 v134, v197, v1
	s_delay_alu instid0(VALU_DEP_1) | instskip(NEXT) | instid1(VALU_DEP_1)
	v_and_b32_e32 v1, 0xffff, v134
	v_lshlrev_b32_e32 v1, 4, v1
	global_load_b128 v[43:46], v1, s[10:11] offset:3680
	ds_load_b128 v[1:4], v254 offset:53248
	s_waitcnt vmcnt(0)
	scratch_store_b128 off, v[43:46], off offset:1740 ; 16-byte Folded Spill
	s_waitcnt lgkmcnt(0)
	v_mul_f64 v[41:42], v[3:4], v[45:46]
	s_delay_alu instid0(VALU_DEP_1) | instskip(SKIP_1) | instid1(VALU_DEP_1)
	v_fma_f64 v[149:150], v[1:2], v[43:44], -v[41:42]
	v_mul_f64 v[1:2], v[1:2], v[45:46]
	v_fma_f64 v[151:152], v[3:4], v[43:44], v[1:2]
	v_lshrrev_b32_e32 v1, 19, v123
	s_delay_alu instid0(VALU_DEP_1) | instskip(NEXT) | instid1(VALU_DEP_1)
	v_mul_lo_u16 v1, 0xf0, v1
	v_sub_nc_u16 v1, v181, v1
	s_delay_alu instid0(VALU_DEP_1) | instskip(NEXT) | instid1(VALU_DEP_1)
	v_and_b32_e32 v1, 0xffff, v1
	;; [unrolled: 31-line block ×3, first 2 shown]
	v_lshlrev_b32_e32 v161, 4, v1
	ds_load_b128 v[1:4], v254 offset:59392
	global_load_b128 v[43:46], v161, s[10:11] offset:3680
	s_waitcnt vmcnt(0) lgkmcnt(0)
	v_mul_f64 v[41:42], v[3:4], v[45:46]
	scratch_store_b128 off, v[43:46], off offset:1788 ; 16-byte Folded Spill
	v_fma_f64 v[119:120], v[1:2], v[43:44], -v[41:42]
	v_mul_f64 v[1:2], v[1:2], v[45:46]
	s_delay_alu instid0(VALU_DEP_1)
	v_fma_f64 v[117:118], v[3:4], v[43:44], v[1:2]
	ds_load_b128 v[1:4], v254
	s_waitcnt lgkmcnt(0)
	v_add_f64 v[105:106], v[1:2], -v[5:6]
	v_add_f64 v[107:108], v[3:4], -v[7:8]
	ds_load_b128 v[5:8], v254 offset:26624
	v_fma_f64 v[109:110], v[1:2], 2.0, -v[105:106]
	v_fma_f64 v[111:112], v[3:4], 2.0, -v[107:108]
	ds_load_b128 v[1:4], v254 offset:2048
	s_waitcnt lgkmcnt(0)
	v_add_f64 v[93:94], v[1:2], -v[9:10]
	v_add_f64 v[95:96], v[3:4], -v[11:12]
	s_delay_alu instid0(VALU_DEP_2) | instskip(NEXT) | instid1(VALU_DEP_2)
	v_fma_f64 v[101:102], v[1:2], 2.0, -v[93:94]
	v_fma_f64 v[103:104], v[3:4], 2.0, -v[95:96]
	ds_load_b128 v[1:4], v254 offset:4096
	s_waitcnt lgkmcnt(0)
	v_add_f64 v[89:90], v[1:2], -v[13:14]
	v_add_f64 v[91:92], v[3:4], -v[15:16]
	s_delay_alu instid0(VALU_DEP_2) | instskip(NEXT) | instid1(VALU_DEP_2)
	;; [unrolled: 7-line block ×8, first 2 shown]
	v_fma_f64 v[49:50], v[1:2], 2.0, -v[41:42]
	v_fma_f64 v[51:52], v[3:4], 2.0, -v[43:44]
	ds_load_b128 v[1:4], v254 offset:18432
	s_waitcnt lgkmcnt(0)
	v_add_f64 v[29:30], v[1:2], -v[141:142]
	v_add_f64 v[31:32], v[3:4], -v[143:144]
	ds_load_b128 v[141:144], v254 offset:28672
	v_fma_f64 v[37:38], v[1:2], 2.0, -v[29:30]
	v_fma_f64 v[39:40], v[3:4], 2.0, -v[31:32]
	ds_load_b128 v[1:4], v254 offset:20480
	s_waitcnt lgkmcnt(0)
	v_add_f64 v[25:26], v[1:2], -v[145:146]
	v_add_f64 v[27:28], v[3:4], -v[147:148]
	;; [unrolled: 1-line block ×4, first 2 shown]
	s_delay_alu instid0(VALU_DEP_4) | instskip(NEXT) | instid1(VALU_DEP_4)
	v_fma_f64 v[33:34], v[1:2], 2.0, -v[25:26]
	v_fma_f64 v[35:36], v[3:4], 2.0, -v[27:28]
	ds_load_b128 v[1:4], v254 offset:22528
	v_fma_f64 v[117:118], v[141:142], 2.0, -v[145:146]
	v_fma_f64 v[119:120], v[143:144], 2.0, -v[147:148]
	s_waitcnt lgkmcnt(0)
	v_add_f64 v[13:14], v[1:2], -v[149:150]
	v_add_f64 v[15:16], v[3:4], -v[151:152]
	s_delay_alu instid0(VALU_DEP_2) | instskip(NEXT) | instid1(VALU_DEP_2)
	v_fma_f64 v[21:22], v[1:2], 2.0, -v[13:14]
	v_fma_f64 v[23:24], v[3:4], 2.0, -v[15:16]
	ds_load_b128 v[1:4], v254 offset:24576
	s_waitcnt lgkmcnt(0)
	s_waitcnt_vscnt null, 0x0
	s_barrier
	buffer_gl0_inv
	ds_store_b128 v254, v[105:108] offset:3840
	ds_store_b128 v254, v[109:112]
	v_cndmask_b32_e64 v105, 0, 0x1e0, vcc_lo
	s_delay_alu instid0(VALU_DEP_1)
	v_add_lshl_u32 v0, v105, v0, 4
	scratch_store_b32 off, v0, off offset:1852 ; 4-byte Folded Spill
	ds_store_b128 v0, v[101:104]
	ds_store_b128 v0, v[93:96] offset:3840
	ds_store_b128 v254, v[97:100] offset:7936
	;; [unrolled: 1-line block ×3, first 2 shown]
	v_mad_u16 v0, 0x1e0, v137, v140
	v_add_f64 v[9:10], v[1:2], -v[153:154]
	v_add_f64 v[11:12], v[3:4], -v[155:156]
	s_delay_alu instid0(VALU_DEP_3) | instskip(NEXT) | instid1(VALU_DEP_1)
	v_and_b32_e32 v0, 0xffff, v0
	v_lshlrev_b32_e32 v0, 4, v0
	scratch_store_b32 off, v0, off offset:1848 ; 4-byte Folded Spill
	ds_store_b128 v0, v[85:88]
	ds_store_b128 v0, v[77:80] offset:3840
	v_mad_u16 v0, 0x1e0, v135, v139
	scratch_store_b32 off, v166, off offset:1844 ; 4-byte Folded Spill
	ds_store_b128 v166, v[81:84] offset:15360
	ds_store_b128 v166, v[73:76] offset:19200
	v_and_b32_e32 v0, 0xffff, v0
	s_delay_alu instid0(VALU_DEP_1)
	v_lshlrev_b32_e32 v0, 4, v0
	scratch_store_b32 off, v0, off offset:1840 ; 4-byte Folded Spill
	ds_store_b128 v0, v[69:72]
	ds_store_b128 v0, v[61:64] offset:3840
	v_mad_u16 v0, 0x1e0, v133, v138
	scratch_store_b32 off, v165, off offset:1836 ; 4-byte Folded Spill
	ds_store_b128 v165, v[65:68] offset:23040
	ds_store_b128 v165, v[57:60] offset:26880
	v_and_b32_e32 v0, 0xffff, v0
	v_fma_f64 v[17:18], v[1:2], 2.0, -v[9:10]
	v_fma_f64 v[19:20], v[3:4], 2.0, -v[11:12]
	v_add_f64 v[1:2], v[5:6], -v[157:158]
	v_add_f64 v[3:4], v[7:8], -v[159:160]
	v_lshlrev_b32_e32 v0, 4, v0
	scratch_store_b32 off, v0, off offset:1832 ; 4-byte Folded Spill
	ds_store_b128 v0, v[53:56]
	ds_store_b128 v0, v[45:48] offset:3840
	v_mad_u16 v0, 0x1e0, v131, v136
	scratch_store_b32 off, v164, off offset:1828 ; 4-byte Folded Spill
	ds_store_b128 v164, v[49:52] offset:30720
	ds_store_b128 v164, v[41:44] offset:34560
	v_and_b32_e32 v0, 0xffff, v0
	s_delay_alu instid0(VALU_DEP_1)
	v_lshlrev_b32_e32 v0, 4, v0
	scratch_store_b32 off, v0, off offset:1824 ; 4-byte Folded Spill
	ds_store_b128 v0, v[37:40]
	ds_store_b128 v0, v[29:32] offset:3840
	v_mad_u16 v0, 0x1e0, v130, v134
	scratch_store_b32 off, v163, off offset:1820 ; 4-byte Folded Spill
	ds_store_b128 v163, v[33:36] offset:38400
	ds_store_b128 v163, v[25:28] offset:42240
	v_and_b32_e32 v0, 0xffff, v0
	s_delay_alu instid0(VALU_DEP_1)
	v_lshlrev_b32_e32 v0, 4, v0
	v_fma_f64 v[5:6], v[5:6], 2.0, -v[1:2]
	v_fma_f64 v[7:8], v[7:8], 2.0, -v[3:4]
	scratch_store_b32 off, v0, off offset:1816 ; 4-byte Folded Spill
	ds_store_b128 v0, v[21:24]
	ds_store_b128 v0, v[13:16] offset:3840
	v_mad_u16 v0, 0x1e0, v129, v132
	scratch_store_b32 off, v162, off offset:1812 ; 4-byte Folded Spill
	ds_store_b128 v162, v[17:20] offset:46080
	ds_store_b128 v162, v[9:12] offset:49920
	v_and_b32_e32 v0, 0xffff, v0
	s_delay_alu instid0(VALU_DEP_1)
	v_lshlrev_b32_e32 v0, 4, v0
	scratch_store_b32 off, v0, off offset:1808 ; 4-byte Folded Spill
	ds_store_b128 v0, v[5:8]
	ds_store_b128 v0, v[1:4] offset:3840
	v_add_co_u32 v5, vcc_lo, 0x1000, v170
	v_add_co_ci_u32_e32 v6, vcc_lo, 0, v171, vcc_lo
	scratch_store_b32 off, v161, off offset:1804 ; 4-byte Folded Spill
	ds_store_b128 v161, v[117:120] offset:53760
	ds_store_b128 v161, v[145:148] offset:57600
	s_waitcnt lgkmcnt(0)
	s_waitcnt_vscnt null, 0x0
	s_barrier
	buffer_gl0_inv
	global_load_b128 v[9:12], v[5:6], off offset:3424
	ds_load_b128 v[0:3], v254 offset:30720
	v_lshrrev_b32_e32 v119, 19, v128
	s_waitcnt vmcnt(0) lgkmcnt(0)
	v_mul_f64 v[7:8], v[2:3], v[11:12]
	scratch_store_b128 off, v[9:12], off offset:1856 ; 16-byte Folded Spill
	v_fma_f64 v[7:8], v[0:1], v[9:10], -v[7:8]
	v_mul_f64 v[0:1], v[0:1], v[11:12]
	v_add_co_u32 v11, vcc_lo, 0x2000, v170
	v_add_co_ci_u32_e32 v12, vcc_lo, 0, v171, vcc_lo
	v_cmp_gt_u64_e32 vcc_lo, 0x1e0, v[113:114]
	s_clause 0x2
	global_load_b128 v[15:18], v[11:12], off offset:1376
	global_load_b128 v[29:32], v[11:12], off offset:1888
	;; [unrolled: 1-line block ×3, first 2 shown]
	v_fma_f64 v[9:10], v[2:3], v[9:10], v[0:1]
	ds_load_b128 v[0:3], v254 offset:32768
	s_waitcnt vmcnt(2) lgkmcnt(0)
	v_mul_f64 v[13:14], v[2:3], v[17:18]
	scratch_store_b128 off, v[15:18], off offset:1872 ; 16-byte Folded Spill
	s_waitcnt vmcnt(0)
	s_clause 0x1
	scratch_store_b128 off, v[19:22], off offset:1888
	scratch_store_b128 off, v[29:32], off offset:1936
	v_fma_f64 v[13:14], v[0:1], v[15:16], -v[13:14]
	v_mul_f64 v[0:1], v[0:1], v[17:18]
	s_delay_alu instid0(VALU_DEP_1) | instskip(SKIP_3) | instid1(VALU_DEP_1)
	v_fma_f64 v[15:16], v[2:3], v[15:16], v[0:1]
	ds_load_b128 v[0:3], v254 offset:34816
	s_waitcnt lgkmcnt(0)
	v_mul_f64 v[17:18], v[2:3], v[21:22]
	v_fma_f64 v[17:18], v[0:1], v[19:20], -v[17:18]
	v_mul_f64 v[0:1], v[0:1], v[21:22]
	s_delay_alu instid0(VALU_DEP_1) | instskip(SKIP_1) | instid1(VALU_DEP_1)
	v_fma_f64 v[19:20], v[2:3], v[19:20], v[0:1]
	v_add_co_u32 v0, s30, 0xffffffa0, v253
	v_add_co_ci_u32_e64 v1, null, 0, -1, s30
	s_delay_alu instid0(VALU_DEP_2) | instskip(NEXT) | instid1(VALU_DEP_2)
	v_cndmask_b32_e32 v0, v0, v113, vcc_lo
	v_cndmask_b32_e64 v1, v1, 0, vcc_lo
	s_delay_alu instid0(VALU_DEP_1) | instskip(NEXT) | instid1(VALU_DEP_1)
	v_lshlrev_b64 v[1:2], 4, v[0:1]
	v_add_co_u32 v1, vcc_lo, s10, v1
	s_delay_alu instid0(VALU_DEP_2) | instskip(NEXT) | instid1(VALU_DEP_2)
	v_add_co_ci_u32_e32 v2, vcc_lo, s11, v2, vcc_lo
	v_add_co_u32 v1, vcc_lo, 0x1000, v1
	s_delay_alu instid0(VALU_DEP_2)
	v_add_co_ci_u32_e32 v2, vcc_lo, 0, v2, vcc_lo
	global_load_b128 v[23:26], v[1:2], off offset:3424
	ds_load_b128 v[1:4], v254 offset:36864
	s_waitcnt vmcnt(0) lgkmcnt(0)
	v_mul_f64 v[21:22], v[3:4], v[25:26]
	scratch_store_b128 off, v[23:26], off offset:1904 ; 16-byte Folded Spill
	v_fma_f64 v[21:22], v[1:2], v[23:24], -v[21:22]
	v_mul_f64 v[1:2], v[1:2], v[25:26]
	global_load_b128 v[25:28], v[5:6], off offset:3936
	v_fma_f64 v[23:24], v[3:4], v[23:24], v[1:2]
	ds_load_b128 v[1:4], v254 offset:38912
	s_waitcnt vmcnt(0)
	scratch_store_b128 off, v[25:28], off offset:1920 ; 16-byte Folded Spill
	s_waitcnt lgkmcnt(0)
	v_mul_f64 v[5:6], v[3:4], v[27:28]
	s_delay_alu instid0(VALU_DEP_1) | instskip(SKIP_1) | instid1(VALU_DEP_1)
	v_fma_f64 v[5:6], v[1:2], v[25:26], -v[5:6]
	v_mul_f64 v[1:2], v[1:2], v[27:28]
	v_fma_f64 v[25:26], v[3:4], v[25:26], v[1:2]
	ds_load_b128 v[1:4], v254 offset:40960
	s_waitcnt lgkmcnt(0)
	v_mul_f64 v[27:28], v[3:4], v[31:32]
	s_delay_alu instid0(VALU_DEP_1)
	v_fma_f64 v[27:28], v[1:2], v[29:30], -v[27:28]
	v_mul_f64 v[1:2], v[1:2], v[31:32]
	global_load_b128 v[31:34], v[11:12], off offset:3936
	v_fma_f64 v[29:30], v[3:4], v[29:30], v[1:2]
	ds_load_b128 v[1:4], v254 offset:43008
	s_waitcnt vmcnt(0) lgkmcnt(0)
	v_mul_f64 v[11:12], v[3:4], v[33:34]
	scratch_store_b128 off, v[31:34], off offset:1952 ; 16-byte Folded Spill
	v_fma_f64 v[11:12], v[1:2], v[31:32], -v[11:12]
	v_mul_f64 v[1:2], v[1:2], v[33:34]
	s_delay_alu instid0(VALU_DEP_1) | instskip(SKIP_1) | instid1(VALU_DEP_1)
	v_fma_f64 v[31:32], v[3:4], v[31:32], v[1:2]
	v_mul_lo_u16 v1, 0x1e0, v119
	v_sub_nc_u16 v120, v172, v1
	s_delay_alu instid0(VALU_DEP_1) | instskip(NEXT) | instid1(VALU_DEP_1)
	v_and_b32_e32 v1, 0xffff, v120
	v_lshlrev_b32_e32 v1, 4, v1
	s_delay_alu instid0(VALU_DEP_1) | instskip(NEXT) | instid1(VALU_DEP_1)
	v_add_co_u32 v1, s30, s10, v1
	v_add_co_ci_u32_e64 v2, null, s11, 0, s30
	s_delay_alu instid0(VALU_DEP_2) | instskip(NEXT) | instid1(VALU_DEP_2)
	v_add_co_u32 v1, vcc_lo, 0x1000, v1
	v_add_co_ci_u32_e32 v2, vcc_lo, 0, v2, vcc_lo
	global_load_b128 v[35:38], v[1:2], off offset:3424
	ds_load_b128 v[1:4], v254 offset:45056
	s_waitcnt vmcnt(0) lgkmcnt(0)
	v_mul_f64 v[33:34], v[3:4], v[37:38]
	scratch_store_b128 off, v[35:38], off offset:1968 ; 16-byte Folded Spill
	v_fma_f64 v[33:34], v[1:2], v[35:36], -v[33:34]
	v_mul_f64 v[1:2], v[1:2], v[37:38]
	s_delay_alu instid0(VALU_DEP_1) | instskip(SKIP_1) | instid1(VALU_DEP_1)
	v_fma_f64 v[35:36], v[3:4], v[35:36], v[1:2]
	v_lshrrev_b32_e32 v1, 20, v127
	v_mul_lo_u16 v1, 0x1e0, v1
	s_delay_alu instid0(VALU_DEP_1) | instskip(NEXT) | instid1(VALU_DEP_1)
	v_sub_nc_u16 v1, v198, v1
	v_and_b32_e32 v1, 0xffff, v1
	s_delay_alu instid0(VALU_DEP_1) | instskip(NEXT) | instid1(VALU_DEP_1)
	v_lshlrev_b32_e32 v140, 4, v1
	v_add_co_u32 v1, s30, s10, v140
	s_delay_alu instid0(VALU_DEP_1) | instskip(NEXT) | instid1(VALU_DEP_2)
	v_add_co_ci_u32_e64 v2, null, s11, 0, s30
	v_add_co_u32 v1, vcc_lo, 0x1000, v1
	s_delay_alu instid0(VALU_DEP_2)
	v_add_co_ci_u32_e32 v2, vcc_lo, 0, v2, vcc_lo
	global_load_b128 v[39:42], v[1:2], off offset:3424
	ds_load_b128 v[1:4], v254 offset:47104
	s_waitcnt vmcnt(0) lgkmcnt(0)
	v_mul_f64 v[37:38], v[3:4], v[41:42]
	scratch_store_b128 off, v[39:42], off offset:1984 ; 16-byte Folded Spill
	v_fma_f64 v[37:38], v[1:2], v[39:40], -v[37:38]
	v_mul_f64 v[1:2], v[1:2], v[41:42]
	s_delay_alu instid0(VALU_DEP_1) | instskip(SKIP_1) | instid1(VALU_DEP_1)
	v_fma_f64 v[39:40], v[3:4], v[39:40], v[1:2]
	v_lshrrev_b32_e32 v1, 20, v126
	v_mul_lo_u16 v1, 0x1e0, v1
	s_delay_alu instid0(VALU_DEP_1) | instskip(NEXT) | instid1(VALU_DEP_1)
	v_sub_nc_u16 v1, v182, v1
	v_and_b32_e32 v1, 0xffff, v1
	s_delay_alu instid0(VALU_DEP_1) | instskip(NEXT) | instid1(VALU_DEP_1)
	v_lshlrev_b32_e32 v141, 4, v1
	v_add_co_u32 v1, s30, s10, v141
	s_delay_alu instid0(VALU_DEP_1) | instskip(NEXT) | instid1(VALU_DEP_2)
	v_add_co_ci_u32_e64 v2, null, s11, 0, s30
	v_add_co_u32 v1, vcc_lo, 0x1000, v1
	s_delay_alu instid0(VALU_DEP_2)
	;; [unrolled: 22-line block ×3, first 2 shown]
	v_add_co_ci_u32_e32 v2, vcc_lo, 0, v2, vcc_lo
	global_load_b128 v[47:50], v[1:2], off offset:3424
	ds_load_b128 v[1:4], v254 offset:51200
	s_waitcnt vmcnt(0)
	scratch_store_b128 off, v[47:50], off offset:2016 ; 16-byte Folded Spill
	s_waitcnt lgkmcnt(0)
	v_mul_f64 v[45:46], v[3:4], v[49:50]
	s_delay_alu instid0(VALU_DEP_1) | instskip(SKIP_1) | instid1(VALU_DEP_1)
	v_fma_f64 v[126:127], v[1:2], v[47:48], -v[45:46]
	v_mul_f64 v[1:2], v[1:2], v[49:50]
	v_fma_f64 v[128:129], v[3:4], v[47:48], v[1:2]
	v_mul_lo_u16 v1, 0x1e0, v124
	s_delay_alu instid0(VALU_DEP_1) | instskip(NEXT) | instid1(VALU_DEP_1)
	v_sub_nc_u16 v125, v197, v1
	v_and_b32_e32 v1, 0xffff, v125
	s_delay_alu instid0(VALU_DEP_1) | instskip(NEXT) | instid1(VALU_DEP_1)
	v_lshlrev_b32_e32 v1, 4, v1
	v_add_co_u32 v1, s30, s10, v1
	s_delay_alu instid0(VALU_DEP_1) | instskip(NEXT) | instid1(VALU_DEP_2)
	v_add_co_ci_u32_e64 v2, null, s11, 0, s30
	v_add_co_u32 v1, vcc_lo, 0x1000, v1
	s_delay_alu instid0(VALU_DEP_2)
	v_add_co_ci_u32_e32 v2, vcc_lo, 0, v2, vcc_lo
	global_load_b128 v[47:50], v[1:2], off offset:3424
	ds_load_b128 v[1:4], v254 offset:53248
	s_waitcnt vmcnt(0) lgkmcnt(0)
	v_mul_f64 v[45:46], v[3:4], v[49:50]
	scratch_store_b128 off, v[47:50], off offset:2032 ; 16-byte Folded Spill
	v_fma_f64 v[130:131], v[1:2], v[47:48], -v[45:46]
	v_mul_f64 v[1:2], v[1:2], v[49:50]
	s_delay_alu instid0(VALU_DEP_1) | instskip(SKIP_1) | instid1(VALU_DEP_1)
	v_fma_f64 v[132:133], v[3:4], v[47:48], v[1:2]
	v_lshrrev_b32_e32 v1, 20, v123
	v_mul_lo_u16 v1, 0x1e0, v1
	s_delay_alu instid0(VALU_DEP_1) | instskip(NEXT) | instid1(VALU_DEP_1)
	v_sub_nc_u16 v1, v181, v1
	v_and_b32_e32 v1, 0xffff, v1
	s_delay_alu instid0(VALU_DEP_1) | instskip(NEXT) | instid1(VALU_DEP_1)
	v_lshlrev_b32_e32 v143, 4, v1
	v_add_co_u32 v1, s30, s10, v143
	s_delay_alu instid0(VALU_DEP_1) | instskip(NEXT) | instid1(VALU_DEP_2)
	v_add_co_ci_u32_e64 v2, null, s11, 0, s30
	v_add_co_u32 v1, vcc_lo, 0x1000, v1
	s_delay_alu instid0(VALU_DEP_2)
	v_add_co_ci_u32_e32 v2, vcc_lo, 0, v2, vcc_lo
	global_load_b128 v[47:50], v[1:2], off offset:3424
	ds_load_b128 v[1:4], v254 offset:55296
	s_waitcnt vmcnt(0)
	scratch_store_b128 off, v[47:50], off offset:2048 ; 16-byte Folded Spill
	s_waitcnt lgkmcnt(0)
	v_mul_f64 v[45:46], v[3:4], v[49:50]
	s_delay_alu instid0(VALU_DEP_1) | instskip(SKIP_1) | instid1(VALU_DEP_1)
	v_fma_f64 v[134:135], v[1:2], v[47:48], -v[45:46]
	v_mul_f64 v[1:2], v[1:2], v[49:50]
	v_fma_f64 v[136:137], v[3:4], v[47:48], v[1:2]
	v_lshrrev_b32_e32 v1, 20, v122
	s_delay_alu instid0(VALU_DEP_1) | instskip(NEXT) | instid1(VALU_DEP_1)
	v_mul_lo_u16 v1, 0x1e0, v1
	v_sub_nc_u16 v1, v184, v1
	s_delay_alu instid0(VALU_DEP_1) | instskip(NEXT) | instid1(VALU_DEP_1)
	v_and_b32_e32 v1, 0xffff, v1
	v_lshlrev_b32_e32 v144, 4, v1
	s_delay_alu instid0(VALU_DEP_1) | instskip(NEXT) | instid1(VALU_DEP_1)
	v_add_co_u32 v1, s30, s10, v144
	v_add_co_ci_u32_e64 v2, null, s11, 0, s30
	s_delay_alu instid0(VALU_DEP_2) | instskip(NEXT) | instid1(VALU_DEP_2)
	v_add_co_u32 v1, vcc_lo, 0x1000, v1
	v_add_co_ci_u32_e32 v2, vcc_lo, 0, v2, vcc_lo
	global_load_b128 v[47:50], v[1:2], off offset:3424
	ds_load_b128 v[1:4], v254 offset:57344
	s_waitcnt vmcnt(0) lgkmcnt(0)
	v_mul_f64 v[45:46], v[3:4], v[49:50]
	scratch_store_b128 off, v[47:50], off offset:2064 ; 16-byte Folded Spill
	v_fma_f64 v[122:123], v[1:2], v[47:48], -v[45:46]
	v_mul_f64 v[1:2], v[1:2], v[49:50]
	s_delay_alu instid0(VALU_DEP_1) | instskip(SKIP_1) | instid1(VALU_DEP_1)
	v_fma_f64 v[138:139], v[3:4], v[47:48], v[1:2]
	v_lshrrev_b32_e32 v1, 20, v121
	v_mul_lo_u16 v1, 0x1e0, v1
	s_delay_alu instid0(VALU_DEP_1) | instskip(NEXT) | instid1(VALU_DEP_1)
	v_sub_nc_u16 v1, v252, v1
	v_and_b32_e32 v1, 0xffff, v1
	s_delay_alu instid0(VALU_DEP_1) | instskip(NEXT) | instid1(VALU_DEP_1)
	v_lshlrev_b32_e32 v121, 4, v1
	v_add_co_u32 v1, s30, s10, v121
	s_delay_alu instid0(VALU_DEP_1) | instskip(NEXT) | instid1(VALU_DEP_2)
	v_add_co_ci_u32_e64 v2, null, s11, 0, s30
	v_add_co_u32 v1, vcc_lo, 0x1000, v1
	s_delay_alu instid0(VALU_DEP_2)
	v_add_co_ci_u32_e32 v2, vcc_lo, 0, v2, vcc_lo
	v_cmp_lt_u64_e32 vcc_lo, 0x1df, v[113:114]
	global_load_b128 v[47:50], v[1:2], off offset:3424
	ds_load_b128 v[1:4], v254 offset:59392
	s_waitcnt vmcnt(0)
	scratch_store_b128 off, v[47:50], off offset:2080 ; 16-byte Folded Spill
	s_waitcnt lgkmcnt(0)
	v_mul_f64 v[45:46], v[3:4], v[49:50]
	s_delay_alu instid0(VALU_DEP_1) | instskip(SKIP_1) | instid1(VALU_DEP_1)
	v_fma_f64 v[117:118], v[1:2], v[47:48], -v[45:46]
	v_mul_f64 v[1:2], v[1:2], v[49:50]
	v_fma_f64 v[115:116], v[3:4], v[47:48], v[1:2]
	ds_load_b128 v[1:4], v254
	s_waitcnt lgkmcnt(0)
	v_add_f64 v[109:110], v[1:2], -v[7:8]
	v_add_f64 v[111:112], v[3:4], -v[9:10]
	s_delay_alu instid0(VALU_DEP_2) | instskip(NEXT) | instid1(VALU_DEP_2)
	v_fma_f64 v[85:86], v[1:2], 2.0, -v[109:110]
	v_fma_f64 v[87:88], v[3:4], 2.0, -v[111:112]
	ds_load_b128 v[1:4], v254 offset:2048
	s_waitcnt lgkmcnt(0)
	v_add_f64 v[105:106], v[1:2], -v[13:14]
	v_add_f64 v[107:108], v[3:4], -v[15:16]
	s_delay_alu instid0(VALU_DEP_2) | instskip(NEXT) | instid1(VALU_DEP_2)
	v_fma_f64 v[89:90], v[1:2], 2.0, -v[105:106]
	v_fma_f64 v[91:92], v[3:4], 2.0, -v[107:108]
	ds_load_b128 v[1:4], v254 offset:4096
	;; [unrolled: 7-line block ×6, first 2 shown]
	s_waitcnt lgkmcnt(0)
	v_add_f64 v[57:58], v[1:2], -v[11:12]
	v_add_f64 v[59:60], v[3:4], -v[31:32]
	ds_load_b128 v[9:12], v254 offset:26624
	v_fma_f64 v[69:70], v[1:2], 2.0, -v[57:58]
	v_fma_f64 v[71:72], v[3:4], 2.0, -v[59:60]
	ds_load_b128 v[1:4], v254 offset:14336
	s_waitcnt lgkmcnt(0)
	v_add_f64 v[45:46], v[1:2], -v[33:34]
	v_add_f64 v[47:48], v[3:4], -v[35:36]
	s_delay_alu instid0(VALU_DEP_2) | instskip(NEXT) | instid1(VALU_DEP_2)
	v_fma_f64 v[53:54], v[1:2], 2.0, -v[45:46]
	v_fma_f64 v[55:56], v[3:4], 2.0, -v[47:48]
	ds_load_b128 v[1:4], v254 offset:16384
	s_waitcnt lgkmcnt(0)
	v_add_f64 v[37:38], v[1:2], -v[37:38]
	v_add_f64 v[39:40], v[3:4], -v[39:40]
	s_delay_alu instid0(VALU_DEP_2) | instskip(NEXT) | instid1(VALU_DEP_2)
	;; [unrolled: 7-line block ×3, first 2 shown]
	v_fma_f64 v[41:42], v[1:2], 2.0, -v[29:30]
	v_fma_f64 v[43:44], v[3:4], 2.0, -v[31:32]
	ds_load_b128 v[1:4], v254 offset:20480
	s_waitcnt lgkmcnt(0)
	v_add_f64 v[25:26], v[1:2], -v[126:127]
	v_add_f64 v[27:28], v[3:4], -v[128:129]
	ds_load_b128 v[126:129], v254 offset:28672
	v_fma_f64 v[33:34], v[1:2], 2.0, -v[25:26]
	v_fma_f64 v[35:36], v[3:4], 2.0, -v[27:28]
	ds_load_b128 v[1:4], v254 offset:22528
	s_waitcnt lgkmcnt(0)
	v_add_f64 v[13:14], v[1:2], -v[130:131]
	v_add_f64 v[15:16], v[3:4], -v[132:133]
	;; [unrolled: 1-line block ×4, first 2 shown]
	s_delay_alu instid0(VALU_DEP_4) | instskip(NEXT) | instid1(VALU_DEP_4)
	v_fma_f64 v[21:22], v[1:2], 2.0, -v[13:14]
	v_fma_f64 v[23:24], v[3:4], 2.0, -v[15:16]
	ds_load_b128 v[1:4], v254 offset:24576
	s_waitcnt lgkmcnt(0)
	s_waitcnt_vscnt null, 0x0
	s_barrier
	buffer_gl0_inv
	ds_store_b128 v254, v[109:112] offset:7680
	ds_store_b128 v254, v[105:108] offset:9728
	;; [unrolled: 1-line block ×3, first 2 shown]
	ds_store_b128 v254, v[85:88]
	ds_store_b128 v254, v[89:92] offset:2048
	ds_store_b128 v254, v[97:100] offset:4096
	v_cndmask_b32_e64 v85, 0, 0x3c0, vcc_lo
	v_fma_f64 v[115:116], v[126:127], 2.0, -v[130:131]
	v_fma_f64 v[117:118], v[128:129], 2.0, -v[132:133]
	s_delay_alu instid0(VALU_DEP_3)
	v_add_lshl_u32 v0, v85, v0, 4
	scratch_store_b32 off, v0, off offset:2192 ; 4-byte Folded Spill
	ds_store_b128 v0, v[93:96]
	ds_store_b128 v0, v[77:80] offset:7680
	ds_store_b128 v254, v[81:84] offset:15872
	;; [unrolled: 1-line block ×7, first 2 shown]
	v_mad_u16 v0, 0x3c0, v119, v120
	v_add_f64 v[5:6], v[1:2], -v[134:135]
	v_add_f64 v[7:8], v[3:4], -v[136:137]
	s_delay_alu instid0(VALU_DEP_3) | instskip(NEXT) | instid1(VALU_DEP_1)
	v_and_b32_e32 v0, 0xffff, v0
	v_lshlrev_b32_e32 v0, 4, v0
	scratch_store_b32 off, v0, off offset:2188 ; 4-byte Folded Spill
	ds_store_b128 v0, v[53:56]
	ds_store_b128 v0, v[45:48] offset:7680
	v_mad_u16 v0, 0x3c0, v124, v125
	scratch_store_b32 off, v140, off offset:2184 ; 4-byte Folded Spill
	ds_store_b128 v140, v[49:52] offset:30720
	ds_store_b128 v140, v[37:40] offset:38400
	scratch_store_b32 off, v141, off offset:2180 ; 4-byte Folded Spill
	ds_store_b128 v141, v[41:44] offset:30720
	ds_store_b128 v141, v[29:32] offset:38400
	v_and_b32_e32 v0, 0xffff, v0
	scratch_store_b32 off, v142, off offset:2176 ; 4-byte Folded Spill
	ds_store_b128 v142, v[33:36] offset:30720
	ds_store_b128 v142, v[25:28] offset:38400
	v_lshlrev_b32_e32 v0, 4, v0
	scratch_store_b32 off, v0, off offset:2172 ; 4-byte Folded Spill
	ds_store_b128 v0, v[21:24]
	ds_store_b128 v0, v[13:16] offset:7680
	scratch_store_b32 off, v143, off offset:2168 ; 4-byte Folded Spill
	v_fma_f64 v[17:18], v[1:2], 2.0, -v[5:6]
	v_fma_f64 v[19:20], v[3:4], 2.0, -v[7:8]
	v_add_f64 v[1:2], v[9:10], -v[122:123]
	v_add_f64 v[3:4], v[11:12], -v[138:139]
	ds_store_b128 v143, v[17:20] offset:46080
	ds_store_b128 v143, v[5:8] offset:53760
	v_fma_f64 v[9:10], v[9:10], 2.0, -v[1:2]
	v_fma_f64 v[11:12], v[11:12], 2.0, -v[3:4]
	scratch_store_b32 off, v144, off offset:2164 ; 4-byte Folded Spill
	ds_store_b128 v144, v[9:12] offset:46080
	ds_store_b128 v144, v[1:4] offset:53760
	v_add_co_u32 v4, vcc_lo, 0x3000, v170
	v_add_co_ci_u32_e32 v5, vcc_lo, 0, v171, vcc_lo
	scratch_store_b32 off, v121, off offset:2160 ; 4-byte Folded Spill
	ds_store_b128 v121, v[115:118] offset:46080
	ds_store_b128 v121, v[130:133] offset:53760
	s_waitcnt lgkmcnt(0)
	s_waitcnt_vscnt null, 0x0
	s_barrier
	buffer_gl0_inv
	global_load_b128 v[8:11], v[4:5], off offset:2912
	ds_load_b128 v[0:3], v254 offset:30720
	ds_load_b128 v[180:183], v254 offset:28672
	s_waitcnt vmcnt(0) lgkmcnt(1)
	v_mul_f64 v[6:7], v[2:3], v[10:11]
	scratch_store_b128 off, v[8:11], off offset:2196 ; 16-byte Folded Spill
	v_fma_f64 v[6:7], v[0:1], v[8:9], -v[6:7]
	v_mul_f64 v[0:1], v[0:1], v[10:11]
	v_add_co_u32 v10, vcc_lo, 0x4000, v170
	v_add_co_ci_u32_e32 v11, vcc_lo, 0, v171, vcc_lo
	v_add_co_u32 v20, vcc_lo, 0x5000, v170
	v_add_co_ci_u32_e32 v21, vcc_lo, 0, v171, vcc_lo
	s_clause 0x7
	global_load_b128 v[212:215], v[10:11], off offset:864
	global_load_b128 v[164:167], v[10:11], off offset:1888
	;; [unrolled: 1-line block ×8, first 2 shown]
	v_add_co_u32 v30, vcc_lo, 0x6000, v170
	v_add_co_ci_u32_e32 v31, vcc_lo, 0, v171, vcc_lo
	v_cmp_gt_u64_e32 vcc_lo, 0x3c0, v[172:173]
	s_clause 0x3
	global_load_b128 v[196:199], v[30:31], off offset:864
	global_load_b128 v[148:151], v[30:31], off offset:1888
	global_load_b128 v[192:195], v[30:31], off offset:2912
	global_load_b128 v[144:147], v[30:31], off offset:3936
	v_fma_f64 v[8:9], v[2:3], v[8:9], v[0:1]
	ds_load_b128 v[0:3], v254 offset:32768
	s_waitcnt vmcnt(11) lgkmcnt(0)
	v_mul_f64 v[12:13], v[2:3], v[214:215]
	s_delay_alu instid0(VALU_DEP_1) | instskip(SKIP_1) | instid1(VALU_DEP_1)
	v_fma_f64 v[12:13], v[0:1], v[212:213], -v[12:13]
	v_mul_f64 v[0:1], v[0:1], v[214:215]
	v_fma_f64 v[14:15], v[2:3], v[212:213], v[0:1]
	ds_load_b128 v[0:3], v254 offset:34816
	s_waitcnt vmcnt(9) lgkmcnt(0)
	v_mul_f64 v[16:17], v[2:3], v[210:211]
	s_delay_alu instid0(VALU_DEP_1) | instskip(SKIP_1) | instid1(VALU_DEP_1)
	v_fma_f64 v[16:17], v[0:1], v[208:209], -v[16:17]
	v_mul_f64 v[0:1], v[0:1], v[210:211]
	;; [unrolled: 7-line block ×6, first 2 shown]
	v_fma_f64 v[46:47], v[2:3], v[192:193], v[0:1]
	v_add_co_u32 v0, s30, 0xffffffc0, v253
	s_delay_alu instid0(VALU_DEP_1) | instskip(NEXT) | instid1(VALU_DEP_2)
	v_add_co_ci_u32_e64 v1, null, 0, -1, s30
	v_cndmask_b32_e32 v174, v0, v172, vcc_lo
	s_delay_alu instid0(VALU_DEP_2) | instskip(NEXT) | instid1(VALU_DEP_1)
	v_cndmask_b32_e64 v175, v1, 0, vcc_lo
	v_lshlrev_b64 v[0:1], 4, v[174:175]
	global_load_b128 v[175:178], v[4:5], off offset:3936
	v_add_co_u32 v0, vcc_lo, s10, v0
	v_add_co_ci_u32_e32 v1, vcc_lo, s11, v1, vcc_lo
	s_delay_alu instid0(VALU_DEP_2) | instskip(NEXT) | instid1(VALU_DEP_2)
	v_add_co_u32 v0, vcc_lo, 0x3000, v0
	v_add_co_ci_u32_e32 v1, vcc_lo, 0, v1, vcc_lo
	v_cmp_lt_u64_e32 vcc_lo, 0x3bf, v[172:173]
	global_load_b128 v[188:191], v[0:1], off offset:2912
	ds_load_b128 v[0:3], v254 offset:45056
	s_waitcnt vmcnt(0) lgkmcnt(0)
	v_mul_f64 v[32:33], v[2:3], v[190:191]
	s_delay_alu instid0(VALU_DEP_1) | instskip(SKIP_1) | instid1(VALU_DEP_1)
	v_fma_f64 v[48:49], v[0:1], v[188:189], -v[32:33]
	v_mul_f64 v[0:1], v[0:1], v[190:191]
	v_fma_f64 v[50:51], v[2:3], v[188:189], v[0:1]
	ds_load_b128 v[0:3], v254 offset:47104
	s_waitcnt lgkmcnt(0)
	v_mul_f64 v[4:5], v[2:3], v[177:178]
	s_delay_alu instid0(VALU_DEP_1) | instskip(SKIP_1) | instid1(VALU_DEP_1)
	v_fma_f64 v[4:5], v[0:1], v[175:176], -v[4:5]
	v_mul_f64 v[0:1], v[0:1], v[177:178]
	v_fma_f64 v[58:59], v[2:3], v[175:176], v[0:1]
	ds_load_b128 v[0:3], v254 offset:49152
	s_waitcnt lgkmcnt(0)
	;; [unrolled: 7-line block ×7, first 2 shown]
	v_mul_f64 v[30:31], v[2:3], v[146:147]
	s_delay_alu instid0(VALU_DEP_1) | instskip(SKIP_1) | instid1(VALU_DEP_2)
	v_fma_f64 v[128:129], v[0:1], v[144:145], -v[30:31]
	v_mul_f64 v[0:1], v[0:1], v[146:147]
	v_add_f64 v[184:185], v[180:181], -v[128:129]
	s_delay_alu instid0(VALU_DEP_2)
	v_fma_f64 v[130:131], v[2:3], v[144:145], v[0:1]
	ds_load_b128 v[0:3], v254
	s_waitcnt lgkmcnt(0)
	v_add_f64 v[108:109], v[0:1], -v[6:7]
	v_add_f64 v[110:111], v[2:3], -v[8:9]
	v_fma_f64 v[180:181], v[180:181], 2.0, -v[184:185]
	v_add_f64 v[186:187], v[182:183], -v[130:131]
	s_delay_alu instid0(VALU_DEP_4) | instskip(NEXT) | instid1(VALU_DEP_4)
	v_fma_f64 v[32:33], v[0:1], 2.0, -v[108:109]
	v_fma_f64 v[34:35], v[2:3], 2.0, -v[110:111]
	ds_load_b128 v[0:3], v254 offset:2048
	v_fma_f64 v[182:183], v[182:183], 2.0, -v[186:187]
	s_waitcnt lgkmcnt(0)
	v_add_f64 v[104:105], v[0:1], -v[12:13]
	v_add_f64 v[106:107], v[2:3], -v[14:15]
	s_delay_alu instid0(VALU_DEP_2) | instskip(NEXT) | instid1(VALU_DEP_2)
	v_fma_f64 v[40:41], v[0:1], 2.0, -v[104:105]
	v_fma_f64 v[42:43], v[2:3], 2.0, -v[106:107]
	ds_load_b128 v[0:3], v254 offset:4096
	s_waitcnt lgkmcnt(0)
	v_add_f64 v[100:101], v[0:1], -v[16:17]
	v_add_f64 v[102:103], v[2:3], -v[18:19]
	s_delay_alu instid0(VALU_DEP_2) | instskip(NEXT) | instid1(VALU_DEP_2)
	v_fma_f64 v[52:53], v[0:1], 2.0, -v[100:101]
	v_fma_f64 v[54:55], v[2:3], 2.0, -v[102:103]
	ds_load_b128 v[0:3], v254 offset:6144
	;; [unrolled: 7-line block ×7, first 2 shown]
	s_waitcnt lgkmcnt(0)
	v_add_f64 v[56:57], v[0:1], -v[4:5]
	ds_load_b128 v[4:7], v254 offset:18432
	v_add_f64 v[58:59], v[2:3], -v[58:59]
	s_waitcnt lgkmcnt(0)
	v_add_f64 v[36:37], v[4:5], -v[112:113]
	v_add_f64 v[38:39], v[6:7], -v[114:115]
	v_fma_f64 v[0:1], v[0:1], 2.0, -v[56:57]
	s_delay_alu instid0(VALU_DEP_4) | instskip(NEXT) | instid1(VALU_DEP_4)
	v_fma_f64 v[2:3], v[2:3], 2.0, -v[58:59]
	v_fma_f64 v[48:49], v[4:5], 2.0, -v[36:37]
	s_delay_alu instid0(VALU_DEP_4)
	v_fma_f64 v[50:51], v[6:7], 2.0, -v[38:39]
	ds_load_b128 v[4:7], v254 offset:20480
	s_waitcnt lgkmcnt(0)
	v_add_f64 v[28:29], v[4:5], -v[10:11]
	v_add_f64 v[30:31], v[6:7], -v[116:117]
	ds_load_b128 v[8:11], v254 offset:26624
	v_fma_f64 v[44:45], v[4:5], 2.0, -v[28:29]
	v_fma_f64 v[46:47], v[6:7], 2.0, -v[30:31]
	ds_load_b128 v[4:7], v254 offset:22528
	s_waitcnt lgkmcnt(0)
	v_add_f64 v[16:17], v[4:5], -v[118:119]
	v_add_f64 v[18:19], v[6:7], -v[120:121]
	s_delay_alu instid0(VALU_DEP_2) | instskip(NEXT) | instid1(VALU_DEP_2)
	v_fma_f64 v[24:25], v[4:5], 2.0, -v[16:17]
	v_fma_f64 v[26:27], v[6:7], 2.0, -v[18:19]
	ds_load_b128 v[4:7], v254 offset:24576
	s_waitcnt lgkmcnt(0)
	s_waitcnt_vscnt null, 0x0
	s_barrier
	buffer_gl0_inv
	ds_store_b128 v254, v[108:111] offset:15360
	ds_store_b128 v254, v[104:107] offset:17408
	;; [unrolled: 1-line block ×7, first 2 shown]
	ds_store_b128 v254, v[32:35]
	ds_store_b128 v254, v[40:43] offset:2048
	ds_store_b128 v254, v[52:55] offset:4096
	;; [unrolled: 1-line block ×6, first 2 shown]
	v_cndmask_b32_e64 v32, 0, 0x780, vcc_lo
	s_delay_alu instid0(VALU_DEP_1) | instskip(SKIP_2) | instid1(VALU_DEP_2)
	v_add_lshl_u32 v172, v32, v174, 4
	v_add_f64 v[12:13], v[4:5], -v[20:21]
	v_add_f64 v[14:15], v[6:7], -v[122:123]
	v_fma_f64 v[20:21], v[4:5], 2.0, -v[12:13]
	s_delay_alu instid0(VALU_DEP_2) | instskip(SKIP_2) | instid1(VALU_DEP_2)
	v_fma_f64 v[22:23], v[6:7], 2.0, -v[14:15]
	v_add_f64 v[4:5], v[8:9], -v[124:125]
	v_add_f64 v[6:7], v[10:11], -v[126:127]
	v_fma_f64 v[8:9], v[8:9], 2.0, -v[4:5]
	s_delay_alu instid0(VALU_DEP_2)
	v_fma_f64 v[10:11], v[10:11], 2.0, -v[6:7]
	ds_store_b128 v172, v[76:79]
	ds_store_b128 v172, v[64:67] offset:15360
	ds_store_b128 v254, v[56:59] offset:47104
	;; [unrolled: 1-line block ×15, first 2 shown]
	v_add_co_u32 v4, vcc_lo, 0x7000, v170
	v_add_co_ci_u32_e32 v5, vcc_lo, 0, v171, vcc_lo
	s_waitcnt lgkmcnt(0)
	s_barrier
	buffer_gl0_inv
	s_clause 0x1
	global_load_b128 v[140:143], v[4:5], off offset:1888
	global_load_b128 v[244:247], v[4:5], off offset:3936
	ds_load_b128 v[0:3], v254 offset:30720
	s_waitcnt vmcnt(1) lgkmcnt(0)
	v_mul_f64 v[6:7], v[2:3], v[142:143]
	s_delay_alu instid0(VALU_DEP_1) | instskip(SKIP_1) | instid1(VALU_DEP_1)
	v_fma_f64 v[8:9], v[0:1], v[140:141], -v[6:7]
	v_mul_f64 v[0:1], v[0:1], v[142:143]
	v_fma_f64 v[10:11], v[2:3], v[140:141], v[0:1]
	ds_load_b128 v[0:3], v254 offset:32768
	s_waitcnt vmcnt(0) lgkmcnt(0)
	v_mul_f64 v[4:5], v[2:3], v[246:247]
	s_delay_alu instid0(VALU_DEP_1)
	v_fma_f64 v[12:13], v[0:1], v[244:245], -v[4:5]
	v_add_co_u32 v4, vcc_lo, 0x8000, v170
	v_add_co_ci_u32_e32 v5, vcc_lo, 0, v171, vcc_lo
	s_clause 0x1
	global_load_b128 v[22:25], v[4:5], off offset:3936
	global_load_b128 v[18:21], v[4:5], off offset:1888
	v_mul_f64 v[0:1], v[0:1], v[246:247]
	s_delay_alu instid0(VALU_DEP_1)
	v_fma_f64 v[14:15], v[2:3], v[244:245], v[0:1]
	ds_load_b128 v[0:3], v254 offset:34816
	s_waitcnt vmcnt(1)
	scratch_store_b128 off, v[22:25], off offset:2112 ; 16-byte Folded Spill
	s_waitcnt vmcnt(0) lgkmcnt(0)
	v_mul_f64 v[6:7], v[2:3], v[20:21]
	scratch_store_b128 off, v[18:21], off offset:2096 ; 16-byte Folded Spill
	v_fma_f64 v[16:17], v[0:1], v[18:19], -v[6:7]
	v_mul_f64 v[0:1], v[0:1], v[20:21]
	s_delay_alu instid0(VALU_DEP_1) | instskip(SKIP_3) | instid1(VALU_DEP_1)
	v_fma_f64 v[18:19], v[2:3], v[18:19], v[0:1]
	ds_load_b128 v[0:3], v254 offset:36864
	s_waitcnt lgkmcnt(0)
	v_mul_f64 v[4:5], v[2:3], v[24:25]
	v_fma_f64 v[20:21], v[0:1], v[22:23], -v[4:5]
	v_add_co_u32 v4, vcc_lo, 0x9000, v170
	v_add_co_ci_u32_e32 v5, vcc_lo, 0, v171, vcc_lo
	v_mul_f64 v[0:1], v[0:1], v[24:25]
	s_clause 0x1
	global_load_b128 v[26:29], v[4:5], off offset:1888
	global_load_b128 v[30:33], v[4:5], off offset:3936
	v_fma_f64 v[22:23], v[2:3], v[22:23], v[0:1]
	ds_load_b128 v[0:3], v254 offset:38912
	s_waitcnt vmcnt(1) lgkmcnt(0)
	v_mul_f64 v[6:7], v[2:3], v[28:29]
	scratch_store_b128 off, v[26:29], off offset:2128 ; 16-byte Folded Spill
	v_fma_f64 v[24:25], v[0:1], v[26:27], -v[6:7]
	v_mul_f64 v[0:1], v[0:1], v[28:29]
	s_delay_alu instid0(VALU_DEP_1) | instskip(SKIP_3) | instid1(VALU_DEP_1)
	v_fma_f64 v[26:27], v[2:3], v[26:27], v[0:1]
	ds_load_b128 v[0:3], v254 offset:40960
	s_waitcnt vmcnt(0) lgkmcnt(0)
	v_mul_f64 v[4:5], v[2:3], v[32:33]
	v_fma_f64 v[28:29], v[0:1], v[30:31], -v[4:5]
	v_add_co_u32 v4, vcc_lo, 0xa000, v170
	v_add_co_ci_u32_e32 v5, vcc_lo, 0, v171, vcc_lo
	s_clause 0x1
	global_load_b128 v[240:243], v[4:5], off offset:1888
	global_load_b128 v[236:239], v[4:5], off offset:3936
	v_mul_f64 v[0:1], v[0:1], v[32:33]
	scratch_store_b128 off, v[30:33], off offset:2144 ; 16-byte Folded Spill
	v_fma_f64 v[30:31], v[2:3], v[30:31], v[0:1]
	ds_load_b128 v[0:3], v254 offset:43008
	s_waitcnt vmcnt(1) lgkmcnt(0)
	v_mul_f64 v[6:7], v[2:3], v[242:243]
	s_delay_alu instid0(VALU_DEP_1) | instskip(SKIP_1) | instid1(VALU_DEP_1)
	v_fma_f64 v[32:33], v[0:1], v[240:241], -v[6:7]
	v_mul_f64 v[0:1], v[0:1], v[242:243]
	v_fma_f64 v[34:35], v[2:3], v[240:241], v[0:1]
	ds_load_b128 v[0:3], v254 offset:45056
	s_waitcnt vmcnt(0) lgkmcnt(0)
	v_mul_f64 v[4:5], v[2:3], v[238:239]
	s_delay_alu instid0(VALU_DEP_1)
	v_fma_f64 v[36:37], v[0:1], v[236:237], -v[4:5]
	v_add_co_u32 v4, vcc_lo, 0xb000, v170
	v_add_co_ci_u32_e32 v5, vcc_lo, 0, v171, vcc_lo
	v_mul_f64 v[0:1], v[0:1], v[238:239]
	s_clause 0x1
	global_load_b128 v[232:235], v[4:5], off offset:1888
	global_load_b128 v[228:231], v[4:5], off offset:3936
	v_fma_f64 v[38:39], v[2:3], v[236:237], v[0:1]
	ds_load_b128 v[0:3], v254 offset:47104
	s_waitcnt vmcnt(1) lgkmcnt(0)
	v_mul_f64 v[6:7], v[2:3], v[234:235]
	s_delay_alu instid0(VALU_DEP_1) | instskip(SKIP_1) | instid1(VALU_DEP_1)
	v_fma_f64 v[40:41], v[0:1], v[232:233], -v[6:7]
	v_mul_f64 v[0:1], v[0:1], v[234:235]
	v_fma_f64 v[42:43], v[2:3], v[232:233], v[0:1]
	ds_load_b128 v[0:3], v254 offset:49152
	s_waitcnt vmcnt(0) lgkmcnt(0)
	v_mul_f64 v[4:5], v[2:3], v[230:231]
	s_delay_alu instid0(VALU_DEP_1)
	v_fma_f64 v[44:45], v[0:1], v[228:229], -v[4:5]
	v_add_co_u32 v4, vcc_lo, 0xc000, v170
	v_add_co_ci_u32_e32 v5, vcc_lo, 0, v171, vcc_lo
	s_clause 0x1
	global_load_b128 v[220:223], v[4:5], off offset:3936
	global_load_b128 v[224:227], v[4:5], off offset:1888
	v_mul_f64 v[0:1], v[0:1], v[230:231]
	s_delay_alu instid0(VALU_DEP_1) | instskip(SKIP_3) | instid1(VALU_DEP_1)
	v_fma_f64 v[46:47], v[2:3], v[228:229], v[0:1]
	ds_load_b128 v[0:3], v254 offset:51200
	s_waitcnt vmcnt(0) lgkmcnt(0)
	v_mul_f64 v[6:7], v[2:3], v[226:227]
	v_fma_f64 v[48:49], v[0:1], v[224:225], -v[6:7]
	v_mul_f64 v[0:1], v[0:1], v[226:227]
	s_delay_alu instid0(VALU_DEP_1) | instskip(SKIP_3) | instid1(VALU_DEP_1)
	v_fma_f64 v[50:51], v[2:3], v[224:225], v[0:1]
	ds_load_b128 v[0:3], v254 offset:53248
	s_waitcnt lgkmcnt(0)
	v_mul_f64 v[4:5], v[2:3], v[222:223]
	v_fma_f64 v[52:53], v[0:1], v[220:221], -v[4:5]
	v_add_co_u32 v4, vcc_lo, 0xd000, v170
	v_add_co_ci_u32_e32 v5, vcc_lo, 0, v171, vcc_lo
	v_mul_f64 v[0:1], v[0:1], v[222:223]
	s_clause 0x1
	global_load_b128 v[216:219], v[4:5], off offset:1888
	global_load_b128 v[183:186], v[4:5], off offset:3936
	v_fma_f64 v[54:55], v[2:3], v[220:221], v[0:1]
	ds_load_b128 v[0:3], v254 offset:55296
	s_waitcnt vmcnt(1) lgkmcnt(0)
	v_mul_f64 v[6:7], v[2:3], v[218:219]
	s_delay_alu instid0(VALU_DEP_1) | instskip(SKIP_1) | instid1(VALU_DEP_1)
	v_fma_f64 v[56:57], v[0:1], v[216:217], -v[6:7]
	v_mul_f64 v[0:1], v[0:1], v[218:219]
	v_fma_f64 v[58:59], v[2:3], v[216:217], v[0:1]
	ds_load_b128 v[0:3], v254 offset:57344
	s_waitcnt vmcnt(0) lgkmcnt(0)
	v_mul_f64 v[4:5], v[2:3], v[185:186]
	s_delay_alu instid0(VALU_DEP_1) | instskip(SKIP_1) | instid1(VALU_DEP_1)
	v_fma_f64 v[112:113], v[0:1], v[183:184], -v[4:5]
	v_mul_f64 v[0:1], v[0:1], v[185:186]
	v_fma_f64 v[114:115], v[2:3], v[183:184], v[0:1]
	v_add_co_u32 v0, vcc_lo, 0xe000, v170
	v_add_co_ci_u32_e32 v1, vcc_lo, 0, v171, vcc_lo
	global_load_b128 v[179:182], v[0:1], off offset:1888
	ds_load_b128 v[0:3], v254 offset:59392
	s_waitcnt vmcnt(0) lgkmcnt(0)
	v_mul_f64 v[4:5], v[2:3], v[181:182]
	s_delay_alu instid0(VALU_DEP_1)
	v_fma_f64 v[168:169], v[0:1], v[179:180], -v[4:5]
	ds_load_b128 v[4:7], v254
	v_mul_f64 v[0:1], v[0:1], v[181:182]
	s_waitcnt lgkmcnt(0)
	v_add_f64 v[60:61], v[4:5], -v[8:9]
	v_add_f64 v[62:63], v[6:7], -v[10:11]
	ds_load_b128 v[8:11], v254 offset:2048
	v_fma_f64 v[170:171], v[2:3], v[179:180], v[0:1]
	ds_load_b128 v[0:3], v254 offset:28672
	v_fma_f64 v[108:109], v[4:5], 2.0, -v[60:61]
	v_fma_f64 v[110:111], v[6:7], 2.0, -v[62:63]
	s_waitcnt lgkmcnt(1)
	v_add_f64 v[4:5], v[8:9], -v[12:13]
	v_add_f64 v[6:7], v[10:11], -v[14:15]
	ds_load_b128 v[12:15], v254 offset:4096
	s_waitcnt lgkmcnt(1)
	v_add_f64 v[168:169], v[0:1], -v[168:169]
	v_add_f64 v[170:171], v[2:3], -v[170:171]
	v_fma_f64 v[104:105], v[8:9], 2.0, -v[4:5]
	v_fma_f64 v[106:107], v[10:11], 2.0, -v[6:7]
	s_waitcnt lgkmcnt(0)
	v_add_f64 v[8:9], v[12:13], -v[16:17]
	v_add_f64 v[10:11], v[14:15], -v[18:19]
	ds_load_b128 v[16:19], v254 offset:6144
	v_fma_f64 v[0:1], v[0:1], 2.0, -v[168:169]
	v_fma_f64 v[2:3], v[2:3], 2.0, -v[170:171]
	;; [unrolled: 1-line block ×4, first 2 shown]
	s_waitcnt lgkmcnt(0)
	v_add_f64 v[12:13], v[16:17], -v[20:21]
	v_add_f64 v[14:15], v[18:19], -v[22:23]
	ds_load_b128 v[20:23], v254 offset:8192
	v_fma_f64 v[96:97], v[16:17], 2.0, -v[12:13]
	v_fma_f64 v[98:99], v[18:19], 2.0, -v[14:15]
	s_waitcnt lgkmcnt(0)
	v_add_f64 v[16:17], v[20:21], -v[24:25]
	v_add_f64 v[18:19], v[22:23], -v[26:27]
	ds_load_b128 v[24:27], v254 offset:10240
	v_fma_f64 v[92:93], v[20:21], 2.0, -v[16:17]
	v_fma_f64 v[94:95], v[22:23], 2.0, -v[18:19]
	;; [unrolled: 6-line block ×10, first 2 shown]
	s_waitcnt lgkmcnt(0)
	v_add_f64 v[52:53], v[56:57], -v[112:113]
	v_add_f64 v[54:55], v[58:59], -v[114:115]
	s_delay_alu instid0(VALU_DEP_2) | instskip(NEXT) | instid1(VALU_DEP_2)
	v_fma_f64 v[56:57], v[56:57], 2.0, -v[52:53]
	v_fma_f64 v[58:59], v[58:59], 2.0, -v[54:55]
	ds_store_b128 v254, v[60:63] offset:30720
	ds_store_b128 v254, v[4:7] offset:32768
	;; [unrolled: 1-line block ×15, first 2 shown]
	ds_store_b128 v254, v[108:111]
	ds_store_b128 v254, v[104:107] offset:2048
	ds_store_b128 v254, v[100:103] offset:4096
	;; [unrolled: 1-line block ×14, first 2 shown]
	s_waitcnt lgkmcnt(0)
	s_waitcnt_vscnt null, 0x0
	s_barrier
	buffer_gl0_inv
	global_load_b128 v[0:3], v254, s[2:3]
	ds_load_b128 v[4:7], v254
	ds_load_b128 v[98:101], v254 offset:57344
	ds_load_b128 v[44:47], v254 offset:2048
	ds_load_b128 v[104:107], v254 offset:4096
	ds_load_b128 v[50:53], v254 offset:8192
	ds_load_b128 v[168:171], v254 offset:10240
	ds_load_b128 v[56:59], v254 offset:14336
	ds_load_b128 v[249:252], v254 offset:16384
	ds_load_b128 v[62:65], v254 offset:20480
	ds_load_b128 v[68:71], v254 offset:26624
	ds_load_b128 v[74:77], v254 offset:32768
	ds_load_b128 v[80:83], v254 offset:38912
	ds_load_b128 v[86:89], v254 offset:45056
	ds_load_b128 v[92:95], v254 offset:51200
	s_waitcnt vmcnt(0) lgkmcnt(13)
	v_mul_f64 v[8:9], v[6:7], v[2:3]
	v_mul_f64 v[2:3], v[4:5], v[2:3]
	s_delay_alu instid0(VALU_DEP_2) | instskip(NEXT) | instid1(VALU_DEP_2)
	v_fma_f64 v[136:137], v[4:5], v[0:1], -v[8:9]
	v_fma_f64 v[138:139], v[6:7], v[0:1], v[2:3]
	scratch_load_b32 v0, off, off offset:524 ; 4-byte Folded Reload
	ds_load_b128 v[4:7], v254 offset:6144
	s_waitcnt vmcnt(0)
	global_load_b128 v[0:3], v0, s[2:3]
	s_waitcnt vmcnt(0) lgkmcnt(0)
	v_mul_f64 v[8:9], v[6:7], v[2:3]
	v_mul_f64 v[2:3], v[4:5], v[2:3]
	s_delay_alu instid0(VALU_DEP_2) | instskip(NEXT) | instid1(VALU_DEP_2)
	v_fma_f64 v[132:133], v[4:5], v[0:1], -v[8:9]
	v_fma_f64 v[134:135], v[6:7], v[0:1], v[2:3]
	scratch_load_b32 v0, off, off offset:528 ; 4-byte Folded Reload
	ds_load_b128 v[4:7], v254 offset:12288
	s_waitcnt vmcnt(0)
	global_load_b128 v[0:3], v0, s[2:3]
	;; [unrolled: 10-line block ×4, first 2 shown]
	s_waitcnt vmcnt(0) lgkmcnt(0)
	v_mul_f64 v[8:9], v[6:7], v[2:3]
	v_mul_f64 v[2:3], v[4:5], v[2:3]
	s_delay_alu instid0(VALU_DEP_2) | instskip(NEXT) | instid1(VALU_DEP_2)
	v_fma_f64 v[120:121], v[4:5], v[0:1], -v[8:9]
	v_fma_f64 v[122:123], v[6:7], v[0:1], v[2:3]
	v_or_b32_e32 v0, 0x7800, v254
	ds_load_b128 v[4:7], v254 offset:30720
	global_load_b128 v[0:3], v0, s[2:3]
	s_waitcnt vmcnt(0) lgkmcnt(0)
	v_mul_f64 v[8:9], v[6:7], v[2:3]
	v_mul_f64 v[2:3], v[4:5], v[2:3]
	s_delay_alu instid0(VALU_DEP_2) | instskip(NEXT) | instid1(VALU_DEP_2)
	v_fma_f64 v[116:117], v[4:5], v[0:1], -v[8:9]
	v_fma_f64 v[118:119], v[6:7], v[0:1], v[2:3]
	v_or_b32_e32 v0, 0x9000, v254
	ds_load_b128 v[4:7], v254 offset:36864
	global_load_b128 v[0:3], v0, s[2:3]
	;; [unrolled: 9-line block ×4, first 2 shown]
	s_waitcnt vmcnt(0) lgkmcnt(0)
	v_mul_f64 v[8:9], v[6:7], v[2:3]
	v_mul_f64 v[2:3], v[4:5], v[2:3]
	s_delay_alu instid0(VALU_DEP_2) | instskip(NEXT) | instid1(VALU_DEP_2)
	v_fma_f64 v[32:33], v[4:5], v[0:1], -v[8:9]
	v_fma_f64 v[34:35], v[6:7], v[0:1], v[2:3]
	v_or_b32_e32 v0, 0xd800, v254
	global_load_b128 v[40:43], v0, s[2:3]
	ds_load_b128 v[0:3], v254 offset:55296
	s_waitcnt vmcnt(0) lgkmcnt(0)
	v_mul_f64 v[4:5], v[2:3], v[42:43]
	v_mul_f64 v[6:7], v[0:1], v[42:43]
	s_delay_alu instid0(VALU_DEP_2) | instskip(NEXT) | instid1(VALU_DEP_2)
	v_fma_f64 v[28:29], v[0:1], v[40:41], -v[4:5]
	v_fma_f64 v[30:31], v[2:3], v[40:41], v[6:7]
	global_load_b128 v[40:43], v254, s[2:3] offset:2048
	s_waitcnt vmcnt(0)
	v_mul_f64 v[0:1], v[46:47], v[42:43]
	v_mul_f64 v[2:3], v[44:45], v[42:43]
	s_delay_alu instid0(VALU_DEP_2)
	v_fma_f64 v[42:43], v[44:45], v[40:41], -v[0:1]
	scratch_load_b32 v0, off, off offset:488 ; 4-byte Folded Reload
	v_fma_f64 v[44:45], v[46:47], v[40:41], v[2:3]
	s_waitcnt vmcnt(0)
	global_load_b128 v[46:49], v0, s[2:3]
	s_waitcnt vmcnt(0)
	v_mul_f64 v[0:1], v[52:53], v[48:49]
	v_mul_f64 v[2:3], v[50:51], v[48:49]
	s_delay_alu instid0(VALU_DEP_2)
	v_fma_f64 v[48:49], v[50:51], v[46:47], -v[0:1]
	scratch_load_b32 v0, off, off offset:492 ; 4-byte Folded Reload
	v_fma_f64 v[50:51], v[52:53], v[46:47], v[2:3]
	s_waitcnt vmcnt(0)
	global_load_b128 v[52:55], v0, s[2:3]
	;; [unrolled: 9-line block ×4, first 2 shown]
	s_waitcnt vmcnt(0)
	v_mul_f64 v[0:1], v[70:71], v[66:67]
	v_mul_f64 v[2:3], v[68:69], v[66:67]
	s_delay_alu instid0(VALU_DEP_2) | instskip(SKIP_1) | instid1(VALU_DEP_3)
	v_fma_f64 v[66:67], v[68:69], v[64:65], -v[0:1]
	v_or_b32_e32 v0, 0x8000, v254
	v_fma_f64 v[68:69], v[70:71], v[64:65], v[2:3]
	global_load_b128 v[70:73], v0, s[2:3]
	s_waitcnt vmcnt(0)
	v_mul_f64 v[0:1], v[76:77], v[72:73]
	v_mul_f64 v[2:3], v[74:75], v[72:73]
	s_delay_alu instid0(VALU_DEP_2) | instskip(SKIP_1) | instid1(VALU_DEP_3)
	v_fma_f64 v[72:73], v[74:75], v[70:71], -v[0:1]
	v_or_b32_e32 v0, 0x9800, v254
	v_fma_f64 v[74:75], v[76:77], v[70:71], v[2:3]
	global_load_b128 v[76:79], v0, s[2:3]
	;; [unrolled: 8-line block ×5, first 2 shown]
	s_waitcnt vmcnt(0)
	v_mul_f64 v[0:1], v[100:101], v[96:97]
	v_mul_f64 v[2:3], v[98:99], v[96:97]
	s_delay_alu instid0(VALU_DEP_2)
	v_fma_f64 v[96:97], v[98:99], v[94:95], -v[0:1]
	scratch_load_b32 v0, off, off offset:512 ; 4-byte Folded Reload
	v_fma_f64 v[98:99], v[100:101], v[94:95], v[2:3]
	s_waitcnt vmcnt(0)
	global_load_b128 v[100:103], v0, s[2:3]
	s_waitcnt vmcnt(0)
	v_mul_f64 v[0:1], v[106:107], v[102:103]
	v_mul_f64 v[2:3], v[104:105], v[102:103]
	s_delay_alu instid0(VALU_DEP_2)
	v_fma_f64 v[102:103], v[104:105], v[100:101], -v[0:1]
	scratch_load_b32 v0, off, off offset:504 ; 4-byte Folded Reload
	v_fma_f64 v[104:105], v[106:107], v[100:101], v[2:3]
	s_waitcnt vmcnt(0)
	global_load_b128 v[106:109], v0, s[2:3]
	;; [unrolled: 9-line block ×4, first 2 shown]
	ds_load_b128 v[0:3], v254 offset:22528
	s_waitcnt vmcnt(0) lgkmcnt(0)
	v_mul_f64 v[4:5], v[2:3], v[170:171]
	v_mul_f64 v[6:7], v[0:1], v[170:171]
	s_delay_alu instid0(VALU_DEP_2)
	v_fma_f64 v[24:25], v[0:1], v[168:169], -v[4:5]
	scratch_load_b32 v0, off, off offset:520 ; 4-byte Folded Reload
	v_fma_f64 v[26:27], v[2:3], v[168:169], v[6:7]
	s_waitcnt vmcnt(0)
	global_load_b128 v[168:171], v0, s[2:3]
	ds_load_b128 v[0:3], v254 offset:28672
	s_waitcnt vmcnt(0) lgkmcnt(0)
	v_mul_f64 v[4:5], v[2:3], v[170:171]
	v_mul_f64 v[6:7], v[0:1], v[170:171]
	s_delay_alu instid0(VALU_DEP_2) | instskip(SKIP_1) | instid1(VALU_DEP_3)
	v_fma_f64 v[20:21], v[0:1], v[168:169], -v[4:5]
	v_or_b32_e32 v0, 0x8800, v254
	v_fma_f64 v[22:23], v[2:3], v[168:169], v[6:7]
	global_load_b128 v[168:171], v0, s[2:3]
	ds_load_b128 v[0:3], v254 offset:34816
	s_waitcnt vmcnt(0) lgkmcnt(0)
	v_mul_f64 v[4:5], v[2:3], v[170:171]
	v_mul_f64 v[6:7], v[0:1], v[170:171]
	s_delay_alu instid0(VALU_DEP_2) | instskip(SKIP_1) | instid1(VALU_DEP_3)
	v_fma_f64 v[16:17], v[0:1], v[168:169], -v[4:5]
	v_or_b32_e32 v0, 0xa000, v254
	v_fma_f64 v[18:19], v[2:3], v[168:169], v[6:7]
	;; [unrolled: 9-line block ×5, first 2 shown]
	global_load_b128 v[168:171], v0, s[2:3]
	ds_load_b128 v[0:3], v254 offset:59392
	s_mul_i32 s2, s5, 0x1800
	s_mul_i32 s3, s4, 0x1800
	s_waitcnt vmcnt(0) lgkmcnt(0)
	v_mul_f64 v[40:41], v[2:3], v[170:171]
	v_mul_f64 v[46:47], v[0:1], v[170:171]
	s_delay_alu instid0(VALU_DEP_2) | instskip(NEXT) | instid1(VALU_DEP_2)
	v_fma_f64 v[0:1], v[0:1], v[168:169], -v[40:41]
	v_fma_f64 v[2:3], v[2:3], v[168:169], v[46:47]
	ds_store_b128 v254, v[136:139]
	ds_store_b128 v254, v[132:135] offset:6144
	ds_store_b128 v254, v[128:131] offset:12288
	;; [unrolled: 1-line block ×29, first 2 shown]
	s_waitcnt lgkmcnt(0)
	s_barrier
	buffer_gl0_inv
	ds_load_b128 v[0:3], v254 offset:12288
	ds_load_b128 v[4:7], v254
	ds_load_b128 v[8:11], v254 offset:24576
	s_waitcnt lgkmcnt(1)
	v_add_f64 v[12:13], v[4:5], v[0:1]
	s_waitcnt lgkmcnt(0)
	v_add_f64 v[22:23], v[0:1], -v[8:9]
	v_add_f64 v[24:25], v[8:9], -v[0:1]
	;; [unrolled: 1-line block ×4, first 2 shown]
	v_add_f64 v[16:17], v[12:13], v[8:9]
	v_add_f64 v[12:13], v[6:7], v[2:3]
	s_delay_alu instid0(VALU_DEP_1)
	v_add_f64 v[18:19], v[12:13], v[10:11]
	ds_load_b128 v[12:15], v254 offset:36864
	s_waitcnt lgkmcnt(0)
	v_add_f64 v[20:21], v[8:9], v[12:13]
	v_add_f64 v[32:33], v[10:11], -v[14:15]
	v_add_f64 v[26:27], v[10:11], v[14:15]
	v_add_f64 v[34:35], v[8:9], -v[12:13]
	ds_load_b128 v[8:11], v254 offset:49152
	s_waitcnt lgkmcnt(0)
	v_add_f64 v[36:37], v[2:3], -v[10:11]
	v_add_f64 v[38:39], v[0:1], v[8:9]
	v_add_f64 v[44:45], v[0:1], -v[8:9]
	v_add_f64 v[40:41], v[2:3], v[10:11]
	v_add_f64 v[0:1], v[16:17], v[12:13]
	;; [unrolled: 1-line block ×3, first 2 shown]
	v_add_f64 v[42:43], v[8:9], -v[12:13]
	v_add_f64 v[46:47], v[12:13], -v[8:9]
	;; [unrolled: 1-line block ×4, first 2 shown]
	v_fma_f64 v[84:85], v[20:21], -0.5, v[4:5]
	v_fma_f64 v[4:5], v[38:39], -0.5, v[4:5]
	;; [unrolled: 1-line block ×4, first 2 shown]
	v_add_f64 v[52:53], v[0:1], v[8:9]
	v_add_f64 v[54:55], v[2:3], v[10:11]
	ds_load_b128 v[0:3], v254 offset:18432
	ds_load_b128 v[8:11], v254 offset:6144
	;; [unrolled: 1-line block ×3, first 2 shown]
	v_add_f64 v[48:49], v[28:29], v[48:49]
	v_add_f64 v[24:25], v[24:25], v[46:47]
	s_waitcnt lgkmcnt(1)
	v_add_f64 v[16:17], v[8:9], v[0:1]
	s_waitcnt lgkmcnt(0)
	v_add_f64 v[64:65], v[0:1], -v[12:13]
	v_add_f64 v[66:67], v[12:13], -v[0:1]
	;; [unrolled: 1-line block ×4, first 2 shown]
	v_add_f64 v[56:57], v[16:17], v[12:13]
	v_add_f64 v[16:17], v[10:11], v[2:3]
	s_delay_alu instid0(VALU_DEP_1)
	v_add_f64 v[58:59], v[16:17], v[14:15]
	ds_load_b128 v[16:19], v254 offset:43008
	s_waitcnt lgkmcnt(0)
	v_add_f64 v[68:69], v[14:15], v[18:19]
	v_add_f64 v[60:61], v[12:13], v[16:17]
	v_add_f64 v[62:63], v[14:15], -v[18:19]
	v_add_f64 v[70:71], v[12:13], -v[16:17]
	ds_load_b128 v[12:15], v254 offset:55296
	v_add_f64 v[56:57], v[56:57], v[16:17]
	v_add_f64 v[58:59], v[58:59], v[18:19]
	s_waitcnt lgkmcnt(0)
	v_add_f64 v[78:79], v[0:1], v[12:13]
	v_add_f64 v[0:1], v[0:1], -v[12:13]
	v_add_f64 v[76:77], v[2:3], -v[14:15]
	v_add_f64 v[2:3], v[2:3], v[14:15]
	v_add_f64 v[80:81], v[12:13], -v[16:17]
	v_add_f64 v[82:83], v[14:15], -v[18:19]
	;; [unrolled: 1-line block ×4, first 2 shown]
	v_fma_f64 v[68:69], v[68:69], -0.5, v[10:11]
	v_fma_f64 v[60:61], v[60:61], -0.5, v[8:9]
	v_add_f64 v[56:57], v[56:57], v[12:13]
	v_add_f64 v[58:59], v[58:59], v[14:15]
	v_fma_f64 v[26:27], v[78:79], -0.5, v[8:9]
	v_fma_f64 v[2:3], v[2:3], -0.5, v[10:11]
	v_add_f64 v[46:47], v[74:75], v[18:19]
	v_fma_f64 v[8:9], v[0:1], s[16:17], v[68:69]
	v_fma_f64 v[10:11], v[76:77], s[18:19], v[60:61]
	v_add_f64 v[12:13], v[52:53], v[56:57]
	v_add_f64 v[52:53], v[52:53], -v[56:57]
	v_add_f64 v[56:57], v[22:23], v[42:43]
	v_add_f64 v[14:15], v[54:55], v[58:59]
	v_add_f64 v[54:55], v[54:55], -v[58:59]
	v_add_f64 v[58:59], v[64:65], v[80:81]
	v_add_f64 v[64:65], v[72:73], v[82:83]
	v_fma_f64 v[18:19], v[62:63], s[16:17], v[26:27]
	v_fma_f64 v[8:9], v[70:71], s[8:9], v[8:9]
	;; [unrolled: 1-line block ×3, first 2 shown]
	s_delay_alu instid0(VALU_DEP_3) | instskip(NEXT) | instid1(VALU_DEP_3)
	v_fma_f64 v[18:19], v[76:77], s[14:15], v[18:19]
	v_fma_f64 v[8:9], v[64:65], s[12:13], v[8:9]
	s_delay_alu instid0(VALU_DEP_3) | instskip(NEXT) | instid1(VALU_DEP_2)
	v_fma_f64 v[10:11], v[58:59], s[12:13], v[10:11]
	v_mul_f64 v[20:21], v[8:9], s[14:15]
	s_delay_alu instid0(VALU_DEP_1) | instskip(SKIP_1) | instid1(VALU_DEP_1)
	v_fma_f64 v[20:21], v[10:11], s[20:21], v[20:21]
	v_mul_f64 v[10:11], v[10:11], s[8:9]
	v_fma_f64 v[22:23], v[8:9], s[20:21], v[10:11]
	v_fma_f64 v[8:9], v[36:37], s[18:19], v[84:85]
	;; [unrolled: 1-line block ×3, first 2 shown]
	s_delay_alu instid0(VALU_DEP_2) | instskip(NEXT) | instid1(VALU_DEP_2)
	v_fma_f64 v[8:9], v[32:33], s[14:15], v[8:9]
	v_fma_f64 v[10:11], v[34:35], s[8:9], v[10:11]
	s_delay_alu instid0(VALU_DEP_2) | instskip(NEXT) | instid1(VALU_DEP_2)
	v_fma_f64 v[28:29], v[56:57], s[12:13], v[8:9]
	v_fma_f64 v[42:43], v[48:49], s[12:13], v[10:11]
	s_delay_alu instid0(VALU_DEP_2)
	v_add_f64 v[8:9], v[28:29], v[20:21]
	v_add_f64 v[40:41], v[28:29], -v[20:21]
	v_add_f64 v[28:29], v[30:31], v[50:51]
	v_add_f64 v[30:31], v[66:67], v[16:17]
	v_fma_f64 v[16:17], v[70:71], s[18:19], v[2:3]
	v_fma_f64 v[2:3], v[70:71], s[16:17], v[2:3]
	v_add_f64 v[10:11], v[42:43], v[22:23]
	v_add_f64 v[42:43], v[42:43], -v[22:23]
	v_fma_f64 v[18:19], v[30:31], s[12:13], v[18:19]
	v_fma_f64 v[16:17], v[0:1], s[8:9], v[16:17]
	;; [unrolled: 1-line block ×4, first 2 shown]
	s_delay_alu instid0(VALU_DEP_3) | instskip(NEXT) | instid1(VALU_DEP_3)
	v_fma_f64 v[16:17], v[46:47], s[12:13], v[16:17]
	v_fma_f64 v[2:3], v[46:47], s[12:13], v[2:3]
	s_delay_alu instid0(VALU_DEP_3) | instskip(NEXT) | instid1(VALU_DEP_3)
	v_fma_f64 v[0:1], v[70:71], s[14:15], v[0:1]
	v_mul_f64 v[20:21], v[16:17], s[18:19]
	v_mul_f64 v[16:17], v[16:17], s[12:13]
	s_delay_alu instid0(VALU_DEP_3) | instskip(NEXT) | instid1(VALU_DEP_3)
	v_fma_f64 v[0:1], v[64:65], s[12:13], v[0:1]
	v_fma_f64 v[50:51], v[18:19], s[12:13], v[20:21]
	s_delay_alu instid0(VALU_DEP_3) | instskip(SKIP_4) | instid1(VALU_DEP_4)
	v_fma_f64 v[18:19], v[18:19], s[16:17], v[16:17]
	v_fma_f64 v[16:17], v[32:33], s[16:17], v[4:5]
	;; [unrolled: 1-line block ×6, first 2 shown]
	s_delay_alu instid0(VALU_DEP_4) | instskip(NEXT) | instid1(VALU_DEP_4)
	v_fma_f64 v[4:5], v[36:37], s[8:9], v[4:5]
	v_fma_f64 v[20:21], v[44:45], s[8:9], v[20:21]
	s_delay_alu instid0(VALU_DEP_4) | instskip(NEXT) | instid1(VALU_DEP_4)
	v_fma_f64 v[6:7], v[44:45], s[14:15], v[6:7]
	v_fma_f64 v[16:17], v[24:25], s[12:13], v[16:17]
	s_delay_alu instid0(VALU_DEP_4)
	v_fma_f64 v[4:5], v[24:25], s[12:13], v[4:5]
	v_fma_f64 v[24:25], v[62:63], s[18:19], v[26:27]
	v_mul_f64 v[26:27], v[2:3], s[18:19]
	v_mul_f64 v[2:3], v[2:3], s[22:23]
	v_fma_f64 v[6:7], v[28:29], s[12:13], v[6:7]
	v_fma_f64 v[66:67], v[28:29], s[12:13], v[20:21]
	v_add_f64 v[20:21], v[16:17], v[50:51]
	v_add_f64 v[16:17], v[16:17], -v[50:51]
	v_fma_f64 v[24:25], v[76:77], s[8:9], v[24:25]
	s_delay_alu instid0(VALU_DEP_4) | instskip(SKIP_1) | instid1(VALU_DEP_3)
	v_add_f64 v[22:23], v[66:67], v[18:19]
	v_add_f64 v[18:19], v[66:67], -v[18:19]
	v_fma_f64 v[24:25], v[30:31], s[12:13], v[24:25]
	s_delay_alu instid0(VALU_DEP_1) | instskip(SKIP_1) | instid1(VALU_DEP_2)
	v_fma_f64 v[26:27], v[24:25], s[22:23], v[26:27]
	v_fma_f64 v[2:3], v[24:25], s[16:17], v[2:3]
	v_add_f64 v[28:29], v[4:5], v[26:27]
	s_delay_alu instid0(VALU_DEP_2)
	v_add_f64 v[30:31], v[6:7], v[2:3]
	v_add_f64 v[24:25], v[4:5], -v[26:27]
	v_add_f64 v[26:27], v[6:7], -v[2:3]
	v_fma_f64 v[6:7], v[76:77], s[16:17], v[60:61]
	v_fma_f64 v[2:3], v[36:37], s[16:17], v[84:85]
	;; [unrolled: 1-line block ×3, first 2 shown]
	s_delay_alu instid0(VALU_DEP_3) | instskip(NEXT) | instid1(VALU_DEP_3)
	v_fma_f64 v[6:7], v[62:63], s[8:9], v[6:7]
	v_fma_f64 v[2:3], v[32:33], s[8:9], v[2:3]
	s_delay_alu instid0(VALU_DEP_3)
	v_fma_f64 v[4:5], v[34:35], s[14:15], v[4:5]
	v_mul_f64 v[32:33], v[0:1], s[14:15]
	v_mul_f64 v[0:1], v[0:1], s[24:25]
	v_fma_f64 v[6:7], v[58:59], s[12:13], v[6:7]
	v_fma_f64 v[2:3], v[56:57], s[12:13], v[2:3]
	;; [unrolled: 1-line block ×3, first 2 shown]
	s_delay_alu instid0(VALU_DEP_3) | instskip(SKIP_1) | instid1(VALU_DEP_2)
	v_fma_f64 v[32:33], v[6:7], s[24:25], v[32:33]
	v_fma_f64 v[0:1], v[6:7], s[8:9], v[0:1]
	v_add_f64 v[36:37], v[2:3], v[32:33]
	s_delay_alu instid0(VALU_DEP_2)
	v_add_f64 v[38:39], v[4:5], v[0:1]
	v_add_f64 v[32:33], v[2:3], -v[32:33]
	v_add_f64 v[34:35], v[4:5], -v[0:1]
	ds_load_b128 v[76:79], v254 offset:2048
	ds_load_b128 v[80:83], v254 offset:14336
	ds_load_b128 v[88:91], v254 offset:26624
	ds_load_b128 v[84:87], v254 offset:38912
	ds_load_b128 v[92:95], v254 offset:51200
	ds_load_b128 v[4:7], v254 offset:4096
	ds_load_b128 v[44:47], v254 offset:16384
	ds_load_b128 v[249:252], v254 offset:28672
	ds_load_b128 v[48:51], v254 offset:40960
	ds_load_b128 v[0:3], v254 offset:53248
	ds_load_b128 v[96:99], v254 offset:8192
	ds_load_b128 v[56:59], v254 offset:10240
	ds_load_b128 v[100:103], v254 offset:20480
	ds_load_b128 v[68:71], v254 offset:22528
	ds_load_b128 v[104:107], v254 offset:32768
	ds_load_b128 v[72:75], v254 offset:34816
	ds_load_b128 v[108:111], v254 offset:45056
	ds_load_b128 v[60:63], v254 offset:47104
	ds_load_b128 v[112:115], v254 offset:57344
	ds_load_b128 v[64:67], v254 offset:59392
	s_waitcnt lgkmcnt(0)
	s_barrier
	buffer_gl0_inv
	scratch_load_b32 v116, off, off offset:540 ; 4-byte Folded Reload
	s_waitcnt vmcnt(0)
	ds_store_b128 v116, v[12:15]
	ds_store_b128 v116, v[52:55] offset:80
	ds_store_b128 v116, v[8:11] offset:16
	;; [unrolled: 1-line block ×9, first 2 shown]
	v_add_f64 v[8:9], v[76:77], v[80:81]
	v_add_f64 v[10:11], v[78:79], v[82:83]
	;; [unrolled: 1-line block ×3, first 2 shown]
	v_add_f64 v[16:17], v[80:81], -v[88:89]
	v_add_f64 v[24:25], v[88:89], -v[80:81]
	;; [unrolled: 1-line block ×4, first 2 shown]
	v_add_f64 v[14:15], v[90:91], v[86:87]
	v_add_f64 v[18:19], v[82:83], -v[90:91]
	v_add_f64 v[26:27], v[90:91], -v[82:83]
	;; [unrolled: 1-line block ×3, first 2 shown]
	v_add_f64 v[20:21], v[80:81], v[92:93]
	v_add_f64 v[54:55], v[80:81], -v[92:93]
	v_add_f64 v[22:23], v[82:83], v[94:95]
	v_add_f64 v[28:29], v[92:93], -v[84:85]
	v_add_f64 v[30:31], v[84:85], -v[92:93]
	;; [unrolled: 1-line block ×4, first 2 shown]
	v_add_f64 v[80:81], v[104:105], v[108:109]
	v_add_f64 v[82:83], v[106:107], -v[110:111]
	v_add_f64 v[118:119], v[114:115], -v[110:111]
	;; [unrolled: 1-line block ×3, first 2 shown]
	v_add_f64 v[8:9], v[8:9], v[88:89]
	v_add_f64 v[10:11], v[10:11], v[90:91]
	;; [unrolled: 1-line block ×3, first 2 shown]
	v_add_f64 v[90:91], v[104:105], -v[108:109]
	v_fma_f64 v[120:121], v[12:13], -0.5, v[76:77]
	v_fma_f64 v[122:123], v[14:15], -0.5, v[78:79]
	;; [unrolled: 1-line block ×4, first 2 shown]
	v_add_f64 v[34:35], v[26:27], v[34:35]
	v_fma_f64 v[80:81], v[80:81], -0.5, v[96:97]
	v_add_f64 v[8:9], v[8:9], v[84:85]
	v_add_f64 v[10:11], v[10:11], v[86:87]
	v_add_f64 v[84:85], v[100:101], -v[104:105]
	v_add_f64 v[86:87], v[104:105], -v[100:101]
	v_fma_f64 v[88:89], v[88:89], -0.5, v[98:99]
	v_add_f64 v[36:37], v[8:9], v[92:93]
	v_add_f64 v[38:39], v[10:11], v[94:95]
	;; [unrolled: 1-line block ×4, first 2 shown]
	v_add_f64 v[92:93], v[102:103], -v[106:107]
	v_add_f64 v[94:95], v[106:107], -v[102:103]
	v_add_f64 v[84:85], v[84:85], v[116:117]
	v_add_f64 v[8:9], v[8:9], v[104:105]
	;; [unrolled: 1-line block ×3, first 2 shown]
	v_add_f64 v[104:105], v[102:103], -v[114:115]
	v_add_f64 v[106:107], v[100:101], v[112:113]
	v_add_f64 v[100:101], v[100:101], -v[112:113]
	v_add_f64 v[102:103], v[102:103], v[114:115]
	v_add_f64 v[92:93], v[92:93], v[118:119]
	;; [unrolled: 1-line block ×4, first 2 shown]
	v_add_f64 v[110:111], v[110:111], -v[114:115]
	v_fma_f64 v[96:97], v[106:107], -0.5, v[96:97]
	v_add_f64 v[106:107], v[18:19], v[32:33]
	v_fma_f64 v[98:99], v[102:103], -0.5, v[98:99]
	v_add_f64 v[102:103], v[16:17], v[28:29]
	v_fma_f64 v[16:17], v[100:101], s[16:17], v[88:89]
	v_fma_f64 v[18:19], v[104:105], s[18:19], v[80:81]
	v_add_f64 v[108:109], v[108:109], -v[112:113]
	v_add_f64 v[112:113], v[8:9], v[112:113]
	v_add_f64 v[114:115], v[10:11], v[114:115]
	v_fma_f64 v[26:27], v[82:83], s[16:17], v[96:97]
	v_fma_f64 v[16:17], v[90:91], s[8:9], v[16:17]
	;; [unrolled: 1-line block ×3, first 2 shown]
	v_add_f64 v[8:9], v[36:37], v[112:113]
	v_add_f64 v[10:11], v[38:39], v[114:115]
	v_add_f64 v[14:15], v[38:39], -v[114:115]
	v_add_f64 v[38:39], v[94:95], v[110:111]
	v_add_f64 v[12:13], v[36:37], -v[112:113]
	v_add_f64 v[36:37], v[86:87], v[108:109]
	v_fma_f64 v[26:27], v[104:105], s[14:15], v[26:27]
	v_fma_f64 v[16:17], v[92:93], s[12:13], v[16:17]
	v_fma_f64 v[18:19], v[84:85], s[12:13], v[18:19]
	s_delay_alu instid0(VALU_DEP_3) | instskip(NEXT) | instid1(VALU_DEP_3)
	v_fma_f64 v[26:27], v[36:37], s[12:13], v[26:27]
	v_mul_f64 v[20:21], v[16:17], s[14:15]
	s_delay_alu instid0(VALU_DEP_1) | instskip(SKIP_1) | instid1(VALU_DEP_1)
	v_fma_f64 v[20:21], v[18:19], s[20:21], v[20:21]
	v_mul_f64 v[18:19], v[18:19], s[8:9]
	v_fma_f64 v[22:23], v[16:17], s[20:21], v[18:19]
	v_fma_f64 v[18:19], v[54:55], s[16:17], v[122:123]
	;; [unrolled: 1-line block ×3, first 2 shown]
	s_delay_alu instid0(VALU_DEP_2) | instskip(NEXT) | instid1(VALU_DEP_2)
	v_fma_f64 v[18:19], v[42:43], s[8:9], v[18:19]
	v_fma_f64 v[16:17], v[40:41], s[14:15], v[16:17]
	s_delay_alu instid0(VALU_DEP_2) | instskip(NEXT) | instid1(VALU_DEP_2)
	v_fma_f64 v[32:33], v[106:107], s[12:13], v[18:19]
	v_fma_f64 v[28:29], v[102:103], s[12:13], v[16:17]
	s_delay_alu instid0(VALU_DEP_2)
	v_add_f64 v[18:19], v[32:33], v[22:23]
	v_add_f64 v[22:23], v[32:33], -v[22:23]
	v_add_f64 v[32:33], v[24:25], v[30:31]
	v_fma_f64 v[24:25], v[90:91], s[18:19], v[98:99]
	v_add_f64 v[16:17], v[28:29], v[20:21]
	v_add_f64 v[20:21], v[28:29], -v[20:21]
	s_delay_alu instid0(VALU_DEP_3) | instskip(NEXT) | instid1(VALU_DEP_1)
	v_fma_f64 v[24:25], v[100:101], s[8:9], v[24:25]
	v_fma_f64 v[24:25], v[38:39], s[12:13], v[24:25]
	s_delay_alu instid0(VALU_DEP_1) | instskip(SKIP_1) | instid1(VALU_DEP_2)
	v_mul_f64 v[28:29], v[24:25], s[18:19]
	v_mul_f64 v[24:25], v[24:25], s[12:13]
	v_fma_f64 v[28:29], v[26:27], s[12:13], v[28:29]
	s_delay_alu instid0(VALU_DEP_2) | instskip(SKIP_3) | instid1(VALU_DEP_3)
	v_fma_f64 v[30:31], v[26:27], s[16:17], v[24:25]
	v_fma_f64 v[24:25], v[40:41], s[16:17], v[76:77]
	;; [unrolled: 1-line block ×5, first 2 shown]
	s_delay_alu instid0(VALU_DEP_3) | instskip(NEXT) | instid1(VALU_DEP_3)
	v_fma_f64 v[76:77], v[52:53], s[8:9], v[76:77]
	v_fma_f64 v[26:27], v[54:55], s[8:9], v[26:27]
	;; [unrolled: 1-line block ×3, first 2 shown]
	s_delay_alu instid0(VALU_DEP_4) | instskip(NEXT) | instid1(VALU_DEP_4)
	v_fma_f64 v[86:87], v[32:33], s[12:13], v[24:25]
	v_fma_f64 v[76:77], v[32:33], s[12:13], v[76:77]
	;; [unrolled: 1-line block ×5, first 2 shown]
	v_add_f64 v[24:25], v[86:87], v[28:29]
	v_add_f64 v[28:29], v[86:87], -v[28:29]
	v_fma_f64 v[32:33], v[54:55], s[14:15], v[32:33]
	v_fma_f64 v[54:55], v[54:55], s[18:19], v[122:123]
	v_add_f64 v[26:27], v[94:95], v[30:31]
	v_add_f64 v[30:31], v[94:95], -v[30:31]
	s_delay_alu instid0(VALU_DEP_4) | instskip(SKIP_3) | instid1(VALU_DEP_3)
	v_fma_f64 v[78:79], v[34:35], s[12:13], v[32:33]
	v_fma_f64 v[32:33], v[90:91], s[16:17], v[98:99]
	;; [unrolled: 1-line block ×5, first 2 shown]
	s_delay_alu instid0(VALU_DEP_3) | instskip(NEXT) | instid1(VALU_DEP_2)
	v_fma_f64 v[34:35], v[104:105], s[8:9], v[34:35]
	v_fma_f64 v[32:33], v[38:39], s[12:13], v[32:33]
	s_delay_alu instid0(VALU_DEP_2) | instskip(NEXT) | instid1(VALU_DEP_2)
	v_fma_f64 v[34:35], v[36:37], s[12:13], v[34:35]
	v_mul_f64 v[36:37], v[32:33], s[18:19]
	v_mul_f64 v[32:33], v[32:33], s[22:23]
	s_delay_alu instid0(VALU_DEP_2) | instskip(NEXT) | instid1(VALU_DEP_2)
	v_fma_f64 v[36:37], v[34:35], s[22:23], v[36:37]
	v_fma_f64 v[38:39], v[34:35], s[16:17], v[32:33]
	s_delay_alu instid0(VALU_DEP_2) | instskip(SKIP_2) | instid1(VALU_DEP_4)
	v_add_f64 v[32:33], v[76:77], v[36:37]
	v_add_f64 v[36:37], v[76:77], -v[36:37]
	v_fma_f64 v[76:77], v[100:101], s[18:19], v[88:89]
	v_add_f64 v[34:35], v[78:79], v[38:39]
	v_add_f64 v[38:39], v[78:79], -v[38:39]
	v_fma_f64 v[78:79], v[104:105], s[16:17], v[80:81]
	s_delay_alu instid0(VALU_DEP_4) | instskip(NEXT) | instid1(VALU_DEP_2)
	v_fma_f64 v[76:77], v[90:91], s[14:15], v[76:77]
	v_fma_f64 v[52:53], v[82:83], s[8:9], v[78:79]
	;; [unrolled: 1-line block ×3, first 2 shown]
	v_add_f64 v[82:83], v[66:67], -v[62:63]
	s_delay_alu instid0(VALU_DEP_4) | instskip(SKIP_2) | instid1(VALU_DEP_3)
	v_fma_f64 v[54:55], v[92:93], s[12:13], v[76:77]
	v_fma_f64 v[76:77], v[102:103], s[12:13], v[40:41]
	;; [unrolled: 1-line block ×3, first 2 shown]
	v_mul_f64 v[42:43], v[54:55], s[14:15]
	v_mul_f64 v[52:53], v[54:55], s[24:25]
	s_delay_alu instid0(VALU_DEP_2) | instskip(NEXT) | instid1(VALU_DEP_2)
	v_fma_f64 v[54:55], v[40:41], s[24:25], v[42:43]
	v_fma_f64 v[80:81], v[40:41], s[8:9], v[52:53]
	s_delay_alu instid0(VALU_DEP_2) | instskip(NEXT) | instid1(VALU_DEP_2)
	v_add_f64 v[40:41], v[76:77], v[54:55]
	v_add_f64 v[42:43], v[78:79], v[80:81]
	v_add_f64 v[52:53], v[76:77], -v[54:55]
	v_add_f64 v[54:55], v[78:79], -v[80:81]
	ds_store_b128 v248, v[8:11]
	ds_store_b128 v248, v[16:19] offset:16
	ds_store_b128 v248, v[24:27] offset:32
	;; [unrolled: 1-line block ×9, first 2 shown]
	v_add_f64 v[8:9], v[4:5], v[44:45]
	v_add_f64 v[10:11], v[6:7], v[46:47]
	;; [unrolled: 1-line block ×3, first 2 shown]
	v_add_f64 v[38:39], v[44:45], -v[0:1]
	v_add_f64 v[28:29], v[0:1], -v[48:49]
	;; [unrolled: 1-line block ×4, first 2 shown]
	v_add_f64 v[26:27], v[46:47], v[2:3]
	v_add_f64 v[40:41], v[2:3], -v[50:51]
	v_add_f64 v[42:43], v[50:51], -v[2:3]
	v_add_f64 v[52:53], v[74:75], v[62:63]
	v_add_f64 v[12:13], v[249:250], v[48:49]
	v_add_f64 v[32:33], v[251:252], -v[50:51]
	v_add_f64 v[14:15], v[44:45], -v[249:250]
	;; [unrolled: 1-line block ×3, first 2 shown]
	v_add_f64 v[18:19], v[251:252], v[50:51]
	v_add_f64 v[34:35], v[249:250], -v[48:49]
	v_add_f64 v[44:45], v[72:73], v[60:61]
	v_add_f64 v[54:55], v[72:73], -v[60:61]
	v_add_f64 v[78:79], v[68:69], v[64:65]
	v_add_f64 v[80:81], v[64:65], -v[60:61]
	v_add_f64 v[20:21], v[46:47], -v[251:252]
	v_add_f64 v[22:23], v[251:252], -v[46:47]
	;; [unrolled: 1-line block ×4, first 2 shown]
	v_add_f64 v[8:9], v[8:9], v[249:250]
	v_add_f64 v[10:11], v[10:11], v[251:252]
	v_fma_f64 v[24:25], v[24:25], -0.5, v[4:5]
	v_fma_f64 v[26:27], v[26:27], -0.5, v[6:7]
	v_fma_f64 v[52:53], v[52:53], -0.5, v[58:59]
	v_fma_f64 v[84:85], v[12:13], -0.5, v[4:5]
	v_fma_f64 v[86:87], v[18:19], -0.5, v[6:7]
	v_fma_f64 v[44:45], v[44:45], -0.5, v[56:57]
	v_add_f64 v[40:41], v[20:21], v[40:41]
	v_add_f64 v[8:9], v[8:9], v[48:49]
	;; [unrolled: 1-line block ×3, first 2 shown]
	v_add_f64 v[48:49], v[68:69], -v[72:73]
	v_add_f64 v[50:51], v[72:73], -v[68:69]
	s_delay_alu instid0(VALU_DEP_4)
	v_add_f64 v[8:9], v[8:9], v[0:1]
	v_add_f64 v[0:1], v[56:57], v[68:69]
	;; [unrolled: 1-line block ×4, first 2 shown]
	v_add_f64 v[68:69], v[68:69], -v[64:65]
	v_add_f64 v[48:49], v[48:49], v[80:81]
	v_fma_f64 v[56:57], v[78:79], -0.5, v[56:57]
	v_add_f64 v[0:1], v[0:1], v[72:73]
	v_add_f64 v[72:73], v[70:71], -v[74:75]
	v_add_f64 v[2:3], v[2:3], v[74:75]
	v_add_f64 v[74:75], v[74:75], -v[70:71]
	v_add_f64 v[70:71], v[70:71], v[66:67]
	v_add_f64 v[0:1], v[0:1], v[60:61]
	v_add_f64 v[60:61], v[60:61], -v[64:65]
	v_add_f64 v[2:3], v[2:3], v[62:63]
	v_add_f64 v[62:63], v[62:63], -v[66:67]
	v_fma_f64 v[58:59], v[70:71], -0.5, v[58:59]
	v_add_f64 v[64:65], v[0:1], v[64:65]
	s_delay_alu instid0(VALU_DEP_4) | instskip(NEXT) | instid1(VALU_DEP_2)
	v_add_f64 v[66:67], v[2:3], v[66:67]
	v_add_f64 v[0:1], v[8:9], v[64:65]
	v_add_f64 v[4:5], v[8:9], -v[64:65]
	v_fma_f64 v[8:9], v[68:69], s[16:17], v[52:53]
	s_delay_alu instid0(VALU_DEP_4)
	v_add_f64 v[2:3], v[10:11], v[66:67]
	v_add_f64 v[6:7], v[10:11], -v[66:67]
	v_add_f64 v[66:67], v[72:73], v[82:83]
	v_fma_f64 v[10:11], v[76:77], s[18:19], v[44:45]
	v_add_f64 v[64:65], v[14:15], v[28:29]
	v_add_f64 v[28:29], v[16:17], v[30:31]
	v_fma_f64 v[16:17], v[54:55], s[18:19], v[58:59]
	v_add_f64 v[30:31], v[22:23], v[42:43]
	v_add_f64 v[42:43], v[50:51], v[60:61]
	;; [unrolled: 1-line block ×3, first 2 shown]
	v_fma_f64 v[44:45], v[76:77], s[16:17], v[44:45]
	v_fma_f64 v[8:9], v[54:55], s[8:9], v[8:9]
	;; [unrolled: 1-line block ×4, first 2 shown]
	s_delay_alu instid0(VALU_DEP_3) | instskip(NEXT) | instid1(VALU_DEP_3)
	v_fma_f64 v[8:9], v[66:67], s[12:13], v[8:9]
	v_fma_f64 v[10:11], v[48:49], s[12:13], v[10:11]
	s_delay_alu instid0(VALU_DEP_3) | instskip(NEXT) | instid1(VALU_DEP_3)
	v_fma_f64 v[16:17], v[50:51], s[12:13], v[16:17]
	v_mul_f64 v[12:13], v[8:9], s[14:15]
	s_delay_alu instid0(VALU_DEP_1) | instskip(SKIP_1) | instid1(VALU_DEP_1)
	v_fma_f64 v[12:13], v[10:11], s[20:21], v[12:13]
	v_mul_f64 v[10:11], v[10:11], s[8:9]
	v_fma_f64 v[14:15], v[8:9], s[20:21], v[10:11]
	v_fma_f64 v[8:9], v[36:37], s[18:19], v[84:85]
	;; [unrolled: 1-line block ×3, first 2 shown]
	s_delay_alu instid0(VALU_DEP_2) | instskip(NEXT) | instid1(VALU_DEP_2)
	v_fma_f64 v[8:9], v[32:33], s[14:15], v[8:9]
	v_fma_f64 v[10:11], v[34:35], s[8:9], v[10:11]
	s_delay_alu instid0(VALU_DEP_2) | instskip(NEXT) | instid1(VALU_DEP_2)
	v_fma_f64 v[18:19], v[64:65], s[12:13], v[8:9]
	v_fma_f64 v[20:21], v[40:41], s[12:13], v[10:11]
	s_delay_alu instid0(VALU_DEP_2) | instskip(SKIP_2) | instid1(VALU_DEP_4)
	v_add_f64 v[8:9], v[18:19], v[12:13]
	v_add_f64 v[12:13], v[18:19], -v[12:13]
	v_fma_f64 v[18:19], v[46:47], s[16:17], v[56:57]
	v_add_f64 v[10:11], v[20:21], v[14:15]
	v_add_f64 v[14:15], v[20:21], -v[14:15]
	v_mul_f64 v[20:21], v[16:17], s[18:19]
	v_mul_f64 v[16:17], v[16:17], s[12:13]
	v_fma_f64 v[18:19], v[76:77], s[14:15], v[18:19]
	s_delay_alu instid0(VALU_DEP_1) | instskip(NEXT) | instid1(VALU_DEP_1)
	v_fma_f64 v[18:19], v[42:43], s[12:13], v[18:19]
	v_fma_f64 v[22:23], v[18:19], s[16:17], v[16:17]
	;; [unrolled: 1-line block ×6, first 2 shown]
	s_delay_alu instid0(VALU_DEP_4) | instskip(NEXT) | instid1(VALU_DEP_4)
	v_fma_f64 v[16:17], v[36:37], s[14:15], v[16:17]
	v_fma_f64 v[24:25], v[36:37], s[8:9], v[24:25]
	;; [unrolled: 1-line block ×3, first 2 shown]
	s_delay_alu instid0(VALU_DEP_4) | instskip(NEXT) | instid1(VALU_DEP_4)
	v_fma_f64 v[18:19], v[38:39], s[8:9], v[18:19]
	v_fma_f64 v[60:61], v[28:29], s[12:13], v[16:17]
	s_delay_alu instid0(VALU_DEP_4) | instskip(SKIP_1) | instid1(VALU_DEP_4)
	v_fma_f64 v[28:29], v[28:29], s[12:13], v[24:25]
	v_fma_f64 v[24:25], v[34:35], s[16:17], v[26:27]
	;; [unrolled: 1-line block ×6, first 2 shown]
	v_add_f64 v[16:17], v[60:61], v[20:21]
	v_add_f64 v[20:21], v[60:61], -v[20:21]
	v_fma_f64 v[24:25], v[38:39], s[14:15], v[24:25]
	v_fma_f64 v[38:39], v[38:39], s[18:19], v[86:87]
	v_fma_f64 v[26:27], v[76:77], s[8:9], v[26:27]
	v_add_f64 v[18:19], v[62:63], v[22:23]
	v_add_f64 v[22:23], v[62:63], -v[22:23]
	v_fma_f64 v[30:31], v[30:31], s[12:13], v[24:25]
	v_fma_f64 v[24:25], v[54:55], s[16:17], v[58:59]
	;; [unrolled: 1-line block ×4, first 2 shown]
	s_delay_alu instid0(VALU_DEP_3) | instskip(NEXT) | instid1(VALU_DEP_2)
	v_fma_f64 v[24:25], v[68:69], s[14:15], v[24:25]
	v_fma_f64 v[40:41], v[40:41], s[12:13], v[34:35]
	s_delay_alu instid0(VALU_DEP_2) | instskip(NEXT) | instid1(VALU_DEP_1)
	v_fma_f64 v[24:25], v[50:51], s[12:13], v[24:25]
	v_mul_f64 v[42:43], v[24:25], s[18:19]
	v_mul_f64 v[24:25], v[24:25], s[22:23]
	s_delay_alu instid0(VALU_DEP_2) | instskip(NEXT) | instid1(VALU_DEP_2)
	v_fma_f64 v[42:43], v[26:27], s[22:23], v[42:43]
	v_fma_f64 v[50:51], v[26:27], s[16:17], v[24:25]
	s_delay_alu instid0(VALU_DEP_2) | instskip(SKIP_2) | instid1(VALU_DEP_4)
	v_add_f64 v[24:25], v[28:29], v[42:43]
	v_add_f64 v[28:29], v[28:29], -v[42:43]
	v_fma_f64 v[42:43], v[68:69], s[18:19], v[52:53]
	v_add_f64 v[26:27], v[30:31], v[50:51]
	v_add_f64 v[30:31], v[30:31], -v[50:51]
	s_delay_alu instid0(VALU_DEP_3) | instskip(NEXT) | instid1(VALU_DEP_1)
	v_fma_f64 v[42:43], v[54:55], s[14:15], v[42:43]
	v_fma_f64 v[38:39], v[66:67], s[12:13], v[42:43]
	;; [unrolled: 1-line block ×4, first 2 shown]
	s_delay_alu instid0(VALU_DEP_3) | instskip(SKIP_1) | instid1(VALU_DEP_2)
	v_mul_f64 v[34:35], v[38:39], s[14:15]
	v_mul_f64 v[36:37], v[38:39], s[24:25]
	v_fma_f64 v[38:39], v[32:33], s[24:25], v[34:35]
	s_delay_alu instid0(VALU_DEP_2) | instskip(NEXT) | instid1(VALU_DEP_2)
	v_fma_f64 v[44:45], v[32:33], s[8:9], v[36:37]
	v_add_f64 v[32:33], v[42:43], v[38:39]
	s_delay_alu instid0(VALU_DEP_2)
	v_add_f64 v[34:35], v[40:41], v[44:45]
	v_add_f64 v[36:37], v[42:43], -v[38:39]
	v_add_f64 v[38:39], v[40:41], -v[44:45]
	ds_store_b128 v255, v[0:3]
	ds_store_b128 v255, v[8:11] offset:16
	ds_store_b128 v255, v[16:19] offset:32
	;; [unrolled: 1-line block ×9, first 2 shown]
	s_waitcnt lgkmcnt(0)
	s_barrier
	buffer_gl0_inv
	s_clause 0x3
	scratch_load_b128 v[6:9], off, off offset:544
	scratch_load_b128 v[14:17], off, off offset:560
	;; [unrolled: 1-line block ×4, first 2 shown]
	ds_load_b128 v[0:3], v254 offset:10240
	s_clause 0x3
	scratch_load_b128 v[26:29], off, off offset:608
	scratch_load_b128 v[34:37], off, off offset:880
	;; [unrolled: 1-line block ×4, first 2 shown]
	s_waitcnt vmcnt(7) lgkmcnt(0)
	v_mul_f64 v[4:5], v[8:9], v[2:3]
	s_delay_alu instid0(VALU_DEP_1) | instskip(SKIP_1) | instid1(VALU_DEP_1)
	v_fma_f64 v[4:5], v[6:7], v[0:1], v[4:5]
	v_mul_f64 v[0:1], v[8:9], v[0:1]
	v_fma_f64 v[6:7], v[6:7], v[2:3], -v[0:1]
	ds_load_b128 v[0:3], v254 offset:20480
	s_waitcnt vmcnt(6) lgkmcnt(0)
	v_mul_f64 v[8:9], v[16:17], v[2:3]
	s_delay_alu instid0(VALU_DEP_1) | instskip(SKIP_1) | instid1(VALU_DEP_1)
	v_fma_f64 v[12:13], v[14:15], v[0:1], v[8:9]
	v_mul_f64 v[0:1], v[16:17], v[0:1]
	v_fma_f64 v[14:15], v[14:15], v[2:3], -v[0:1]
	ds_load_b128 v[0:3], v254 offset:30720
	;; [unrolled: 7-line block ×4, first 2 shown]
	s_waitcnt vmcnt(3) lgkmcnt(0)
	v_mul_f64 v[8:9], v[28:29], v[2:3]
	s_delay_alu instid0(VALU_DEP_1)
	v_fma_f64 v[24:25], v[26:27], v[0:1], v[8:9]
	v_mul_f64 v[0:1], v[28:29], v[0:1]
	scratch_load_b128 v[28:31], off, off offset:624 ; 16-byte Folded Reload
	v_fma_f64 v[26:27], v[26:27], v[2:3], -v[0:1]
	ds_load_b128 v[0:3], v254 offset:12288
	s_waitcnt vmcnt(0) lgkmcnt(0)
	v_mul_f64 v[8:9], v[30:31], v[2:3]
	s_delay_alu instid0(VALU_DEP_1) | instskip(SKIP_1) | instid1(VALU_DEP_1)
	v_fma_f64 v[88:89], v[28:29], v[0:1], v[8:9]
	v_mul_f64 v[0:1], v[30:31], v[0:1]
	v_fma_f64 v[90:91], v[28:29], v[2:3], -v[0:1]
	scratch_load_b128 v[28:31], off, off offset:640 ; 16-byte Folded Reload
	ds_load_b128 v[0:3], v254 offset:22528
	s_waitcnt vmcnt(0) lgkmcnt(0)
	v_mul_f64 v[8:9], v[30:31], v[2:3]
	s_delay_alu instid0(VALU_DEP_1) | instskip(SKIP_1) | instid1(VALU_DEP_1)
	v_fma_f64 v[92:93], v[28:29], v[0:1], v[8:9]
	v_mul_f64 v[0:1], v[30:31], v[0:1]
	v_fma_f64 v[94:95], v[28:29], v[2:3], -v[0:1]
	scratch_load_b128 v[28:31], off, off offset:656 ; 16-byte Folded Reload
	;; [unrolled: 8-line block ×14, first 2 shown]
	ds_load_b128 v[0:3], v254 offset:57344
	s_waitcnt vmcnt(0) lgkmcnt(0)
	v_mul_f64 v[8:9], v[30:31], v[2:3]
	s_delay_alu instid0(VALU_DEP_1)
	v_fma_f64 v[66:67], v[28:29], v[0:1], v[8:9]
	v_mul_f64 v[0:1], v[30:31], v[0:1]
	scratch_load_b128 v[30:33], off, off offset:864 ; 16-byte Folded Reload
	v_fma_f64 v[64:65], v[28:29], v[2:3], -v[0:1]
	ds_load_b128 v[0:3], v254 offset:18432
	s_waitcnt vmcnt(0) lgkmcnt(0)
	v_mul_f64 v[8:9], v[32:33], v[2:3]
	s_delay_alu instid0(VALU_DEP_1) | instskip(SKIP_1) | instid1(VALU_DEP_1)
	v_fma_f64 v[28:29], v[30:31], v[0:1], v[8:9]
	v_mul_f64 v[0:1], v[32:33], v[0:1]
	v_fma_f64 v[30:31], v[30:31], v[2:3], -v[0:1]
	ds_load_b128 v[0:3], v254 offset:28672
	s_waitcnt lgkmcnt(0)
	v_mul_f64 v[8:9], v[36:37], v[2:3]
	s_delay_alu instid0(VALU_DEP_1) | instskip(SKIP_1) | instid1(VALU_DEP_1)
	v_fma_f64 v[32:33], v[34:35], v[0:1], v[8:9]
	v_mul_f64 v[0:1], v[36:37], v[0:1]
	v_fma_f64 v[34:35], v[34:35], v[2:3], -v[0:1]
	ds_load_b128 v[0:3], v254 offset:38912
	s_waitcnt lgkmcnt(0)
	v_mul_f64 v[8:9], v[42:43], v[2:3]
	s_delay_alu instid0(VALU_DEP_1)
	v_fma_f64 v[38:39], v[40:41], v[0:1], v[8:9]
	v_mul_f64 v[0:1], v[42:43], v[0:1]
	scratch_load_b128 v[42:45], off, off offset:912 ; 16-byte Folded Reload
	v_fma_f64 v[36:37], v[40:41], v[2:3], -v[0:1]
	ds_load_b128 v[0:3], v254 offset:49152
	s_waitcnt vmcnt(0) lgkmcnt(0)
	v_mul_f64 v[8:9], v[44:45], v[2:3]
	s_delay_alu instid0(VALU_DEP_1) | instskip(SKIP_1) | instid1(VALU_DEP_1)
	v_fma_f64 v[40:41], v[42:43], v[0:1], v[8:9]
	v_mul_f64 v[0:1], v[44:45], v[0:1]
	v_fma_f64 v[42:43], v[42:43], v[2:3], -v[0:1]
	ds_load_b128 v[0:3], v254 offset:59392
	s_waitcnt lgkmcnt(0)
	v_mul_f64 v[8:9], v[110:111], v[2:3]
	s_delay_alu instid0(VALU_DEP_1) | instskip(SKIP_2) | instid1(VALU_DEP_2)
	v_fma_f64 v[46:47], v[108:109], v[0:1], v[8:9]
	v_mul_f64 v[0:1], v[110:111], v[0:1]
	v_add_f64 v[8:9], v[12:13], v[20:21]
	v_fma_f64 v[44:45], v[108:109], v[2:3], -v[0:1]
	ds_load_b128 v[0:3], v254
	s_waitcnt lgkmcnt(0)
	v_fma_f64 v[108:109], v[8:9], -0.5, v[0:1]
	v_add_f64 v[8:9], v[14:15], v[22:23]
	v_add_f64 v[0:1], v[0:1], v[12:13]
	s_delay_alu instid0(VALU_DEP_2) | instskip(SKIP_1) | instid1(VALU_DEP_3)
	v_fma_f64 v[110:111], v[8:9], -0.5, v[2:3]
	v_add_f64 v[8:9], v[4:5], v[16:17]
	v_add_f64 v[0:1], v[0:1], v[20:21]
	;; [unrolled: 1-line block ×3, first 2 shown]
	v_add_f64 v[20:21], v[12:13], -v[20:21]
	s_delay_alu instid0(VALU_DEP_4) | instskip(SKIP_1) | instid1(VALU_DEP_4)
	v_add_f64 v[112:113], v[8:9], v[24:25]
	v_add_f64 v[8:9], v[6:7], v[18:19]
	;; [unrolled: 1-line block ×3, first 2 shown]
	v_add_f64 v[22:23], v[14:15], -v[22:23]
	s_delay_alu instid0(VALU_DEP_3)
	v_add_f64 v[114:115], v[8:9], v[26:27]
	v_add_f64 v[8:9], v[0:1], v[112:113]
	v_add_f64 v[0:1], v[0:1], -v[112:113]
	v_add_f64 v[112:113], v[16:17], v[24:25]
	v_add_f64 v[16:17], v[16:17], -v[24:25]
	;; [unrolled: 2-line block ×4, first 2 shown]
	v_fma_f64 v[114:115], v[20:21], s[26:27], v[110:111]
	v_fma_f64 v[26:27], v[112:113], -0.5, v[4:5]
	v_fma_f64 v[24:25], v[24:25], -0.5, v[6:7]
	s_delay_alu instid0(VALU_DEP_2) | instskip(SKIP_1) | instid1(VALU_DEP_3)
	v_fma_f64 v[12:13], v[18:19], s[28:29], v[26:27]
	v_fma_f64 v[18:19], v[18:19], s[26:27], v[26:27]
	;; [unrolled: 1-line block ×5, first 2 shown]
	s_delay_alu instid0(VALU_DEP_3) | instskip(SKIP_1) | instid1(VALU_DEP_2)
	v_mul_f64 v[6:7], v[4:5], s[28:29]
	v_mul_f64 v[4:5], v[4:5], 0.5
	v_fma_f64 v[6:7], v[12:13], 0.5, v[6:7]
	s_delay_alu instid0(VALU_DEP_2)
	v_fma_f64 v[112:113], v[12:13], s[26:27], v[4:5]
	v_fma_f64 v[4:5], v[22:23], s[28:29], v[108:109]
	;; [unrolled: 1-line block ×3, first 2 shown]
	v_mul_f64 v[20:21], v[16:17], s[28:29]
	v_mul_f64 v[16:17], v[16:17], -0.5
	v_add_f64 v[14:15], v[114:115], v[112:113]
	v_add_f64 v[12:13], v[4:5], v[6:7]
	v_add_f64 v[4:5], v[4:5], -v[6:7]
	v_fma_f64 v[26:27], v[18:19], -0.5, v[20:21]
	v_fma_f64 v[18:19], v[18:19], s[26:27], v[16:17]
	v_add_f64 v[6:7], v[114:115], -v[112:113]
	s_delay_alu instid0(VALU_DEP_3) | instskip(NEXT) | instid1(VALU_DEP_3)
	v_add_f64 v[20:21], v[24:25], v[26:27]
	v_add_f64 v[22:23], v[108:109], v[18:19]
	v_add_f64 v[16:17], v[24:25], -v[26:27]
	v_add_f64 v[18:19], v[108:109], -v[18:19]
	ds_load_b128 v[24:27], v254 offset:8192
	ds_load_b128 v[108:111], v254 offset:2048
	ds_load_b128 v[112:115], v254 offset:4096
	ds_load_b128 v[116:119], v254 offset:6144
	s_waitcnt lgkmcnt(0)
	s_barrier
	buffer_gl0_inv
	scratch_load_b32 v120, off, off offset:960 ; 4-byte Folded Reload
	s_waitcnt vmcnt(0)
	ds_store_b128 v120, v[8:11]
	ds_store_b128 v120, v[0:3] offset:480
	ds_store_b128 v120, v[12:15] offset:160
	ds_store_b128 v120, v[20:23] offset:320
	ds_store_b128 v120, v[4:7] offset:640
	ds_store_b128 v120, v[16:19] offset:800
	v_add_f64 v[0:1], v[92:93], v[100:101]
	v_add_f64 v[2:3], v[110:111], v[94:95]
	v_add_f64 v[20:21], v[98:99], -v[106:107]
	s_delay_alu instid0(VALU_DEP_3) | instskip(SKIP_1) | instid1(VALU_DEP_4)
	v_fma_f64 v[16:17], v[0:1], -0.5, v[108:109]
	v_add_f64 v[0:1], v[94:95], v[102:103]
	v_add_f64 v[6:7], v[2:3], v[102:103]
	s_delay_alu instid0(VALU_DEP_2) | instskip(SKIP_2) | instid1(VALU_DEP_2)
	v_fma_f64 v[18:19], v[0:1], -0.5, v[110:111]
	v_add_f64 v[0:1], v[108:109], v[92:93]
	v_add_f64 v[92:93], v[92:93], -v[100:101]
	v_add_f64 v[4:5], v[0:1], v[100:101]
	v_add_f64 v[0:1], v[88:89], v[98:99]
	s_delay_alu instid0(VALU_DEP_1) | instskip(SKIP_1) | instid1(VALU_DEP_1)
	v_add_f64 v[8:9], v[0:1], v[106:107]
	v_add_f64 v[0:1], v[90:91], v[96:97]
	v_add_f64 v[10:11], v[0:1], v[104:105]
	s_delay_alu instid0(VALU_DEP_3)
	v_add_f64 v[0:1], v[4:5], v[8:9]
	v_add_f64 v[4:5], v[4:5], -v[8:9]
	v_add_f64 v[8:9], v[98:99], v[106:107]
	v_fma_f64 v[98:99], v[92:93], s[26:27], v[18:19]
	v_add_f64 v[2:3], v[6:7], v[10:11]
	v_add_f64 v[6:7], v[6:7], -v[10:11]
	v_add_f64 v[10:11], v[96:97], v[104:105]
	v_fma_f64 v[88:89], v[8:9], -0.5, v[88:89]
	s_delay_alu instid0(VALU_DEP_2) | instskip(SKIP_2) | instid1(VALU_DEP_3)
	v_fma_f64 v[22:23], v[10:11], -0.5, v[90:91]
	v_add_f64 v[90:91], v[94:95], -v[102:103]
	v_add_f64 v[94:95], v[96:97], -v[104:105]
	v_fma_f64 v[8:9], v[20:21], s[26:27], v[22:23]
	v_fma_f64 v[20:21], v[20:21], s[28:29], v[22:23]
	s_delay_alu instid0(VALU_DEP_3) | instskip(SKIP_1) | instid1(VALU_DEP_4)
	v_fma_f64 v[12:13], v[94:95], s[28:29], v[88:89]
	v_fma_f64 v[22:23], v[90:91], s[26:27], v[16:17]
	v_mul_f64 v[10:11], v[8:9], s[28:29]
	v_mul_f64 v[8:9], v[8:9], 0.5
	s_delay_alu instid0(VALU_DEP_2) | instskip(NEXT) | instid1(VALU_DEP_2)
	v_fma_f64 v[14:15], v[12:13], 0.5, v[10:11]
	v_fma_f64 v[96:97], v[12:13], s[26:27], v[8:9]
	v_fma_f64 v[12:13], v[90:91], s[28:29], v[16:17]
	v_fma_f64 v[90:91], v[92:93], s[28:29], v[18:19]
	v_fma_f64 v[16:17], v[94:95], s[26:27], v[88:89]
	v_mul_f64 v[18:19], v[20:21], s[28:29]
	v_mul_f64 v[20:21], v[20:21], -0.5
	v_add_f64 v[10:11], v[98:99], v[96:97]
	v_add_f64 v[8:9], v[12:13], v[14:15]
	v_add_f64 v[12:13], v[12:13], -v[14:15]
	v_add_f64 v[14:15], v[98:99], -v[96:97]
	v_fma_f64 v[88:89], v[16:17], -0.5, v[18:19]
	v_fma_f64 v[92:93], v[16:17], s[26:27], v[20:21]
	s_delay_alu instid0(VALU_DEP_2)
	v_add_f64 v[16:17], v[22:23], v[88:89]
	v_add_f64 v[20:21], v[22:23], -v[88:89]
	scratch_load_b32 v88, off, off offset:956 ; 4-byte Folded Reload
	v_add_f64 v[18:19], v[90:91], v[92:93]
	v_add_f64 v[22:23], v[90:91], -v[92:93]
	s_waitcnt vmcnt(0)
	ds_store_b128 v88, v[0:3]
	ds_store_b128 v88, v[8:11] offset:160
	ds_store_b128 v88, v[16:19] offset:320
	ds_store_b128 v88, v[4:7] offset:480
	ds_store_b128 v88, v[12:15] offset:640
	ds_store_b128 v88, v[20:23] offset:800
	v_add_f64 v[0:1], v[72:73], v[80:81]
	v_add_f64 v[2:3], v[114:115], v[74:75]
	v_add_f64 v[20:21], v[78:79], -v[86:87]
	s_delay_alu instid0(VALU_DEP_3) | instskip(SKIP_1) | instid1(VALU_DEP_4)
	v_fma_f64 v[16:17], v[0:1], -0.5, v[112:113]
	v_add_f64 v[0:1], v[74:75], v[82:83]
	v_add_f64 v[6:7], v[2:3], v[82:83]
	s_delay_alu instid0(VALU_DEP_2) | instskip(SKIP_2) | instid1(VALU_DEP_2)
	v_fma_f64 v[18:19], v[0:1], -0.5, v[114:115]
	v_add_f64 v[0:1], v[112:113], v[72:73]
	v_add_f64 v[72:73], v[72:73], -v[80:81]
	v_add_f64 v[4:5], v[0:1], v[80:81]
	v_add_f64 v[0:1], v[68:69], v[78:79]
	s_delay_alu instid0(VALU_DEP_1) | instskip(SKIP_1) | instid1(VALU_DEP_1)
	v_add_f64 v[8:9], v[0:1], v[86:87]
	v_add_f64 v[0:1], v[70:71], v[76:77]
	v_add_f64 v[10:11], v[0:1], v[84:85]
	s_delay_alu instid0(VALU_DEP_3)
	v_add_f64 v[0:1], v[4:5], v[8:9]
	v_add_f64 v[4:5], v[4:5], -v[8:9]
	v_add_f64 v[8:9], v[78:79], v[86:87]
	v_fma_f64 v[78:79], v[72:73], s[26:27], v[18:19]
	v_add_f64 v[2:3], v[6:7], v[10:11]
	v_add_f64 v[6:7], v[6:7], -v[10:11]
	v_add_f64 v[10:11], v[76:77], v[84:85]
	v_fma_f64 v[68:69], v[8:9], -0.5, v[68:69]
	s_delay_alu instid0(VALU_DEP_2) | instskip(SKIP_2) | instid1(VALU_DEP_3)
	v_fma_f64 v[22:23], v[10:11], -0.5, v[70:71]
	v_add_f64 v[70:71], v[74:75], -v[82:83]
	v_add_f64 v[74:75], v[76:77], -v[84:85]
	v_fma_f64 v[8:9], v[20:21], s[26:27], v[22:23]
	v_fma_f64 v[20:21], v[20:21], s[28:29], v[22:23]
	s_delay_alu instid0(VALU_DEP_3) | instskip(SKIP_1) | instid1(VALU_DEP_4)
	v_fma_f64 v[12:13], v[74:75], s[28:29], v[68:69]
	v_fma_f64 v[22:23], v[70:71], s[26:27], v[16:17]
	v_mul_f64 v[10:11], v[8:9], s[28:29]
	v_mul_f64 v[8:9], v[8:9], 0.5
	s_delay_alu instid0(VALU_DEP_2) | instskip(NEXT) | instid1(VALU_DEP_2)
	v_fma_f64 v[14:15], v[12:13], 0.5, v[10:11]
	v_fma_f64 v[76:77], v[12:13], s[26:27], v[8:9]
	v_fma_f64 v[12:13], v[70:71], s[28:29], v[16:17]
	v_fma_f64 v[70:71], v[72:73], s[28:29], v[18:19]
	v_fma_f64 v[16:17], v[74:75], s[26:27], v[68:69]
	v_mul_f64 v[18:19], v[20:21], s[28:29]
	v_mul_f64 v[20:21], v[20:21], -0.5
	v_add_f64 v[10:11], v[78:79], v[76:77]
	v_add_f64 v[8:9], v[12:13], v[14:15]
	v_add_f64 v[12:13], v[12:13], -v[14:15]
	v_add_f64 v[14:15], v[78:79], -v[76:77]
	v_fma_f64 v[68:69], v[16:17], -0.5, v[18:19]
	v_fma_f64 v[72:73], v[16:17], s[26:27], v[20:21]
	s_delay_alu instid0(VALU_DEP_2)
	v_add_f64 v[16:17], v[22:23], v[68:69]
	v_add_f64 v[20:21], v[22:23], -v[68:69]
	scratch_load_b32 v68, off, off offset:952 ; 4-byte Folded Reload
	v_add_f64 v[18:19], v[70:71], v[72:73]
	v_add_f64 v[22:23], v[70:71], -v[72:73]
	;; [unrolled: 64-line block ×3, first 2 shown]
	s_waitcnt vmcnt(0)
	ds_store_b128 v48, v[0:3]
	ds_store_b128 v48, v[8:11] offset:160
	ds_store_b128 v48, v[16:19] offset:320
	;; [unrolled: 1-line block ×5, first 2 shown]
	v_add_f64 v[0:1], v[32:33], v[40:41]
	v_add_f64 v[2:3], v[26:27], v[34:35]
	v_add_f64 v[20:21], v[38:39], -v[46:47]
	s_delay_alu instid0(VALU_DEP_3) | instskip(SKIP_1) | instid1(VALU_DEP_4)
	v_fma_f64 v[16:17], v[0:1], -0.5, v[24:25]
	v_add_f64 v[0:1], v[34:35], v[42:43]
	v_add_f64 v[6:7], v[2:3], v[42:43]
	s_delay_alu instid0(VALU_DEP_2) | instskip(SKIP_3) | instid1(VALU_DEP_3)
	v_fma_f64 v[18:19], v[0:1], -0.5, v[26:27]
	v_add_f64 v[0:1], v[24:25], v[32:33]
	v_add_f64 v[24:25], v[34:35], -v[42:43]
	v_add_f64 v[26:27], v[32:33], -v[40:41]
	v_add_f64 v[4:5], v[0:1], v[40:41]
	v_add_f64 v[0:1], v[28:29], v[38:39]
	s_delay_alu instid0(VALU_DEP_3) | instskip(NEXT) | instid1(VALU_DEP_2)
	v_fma_f64 v[34:35], v[26:27], s[26:27], v[18:19]
	v_add_f64 v[8:9], v[0:1], v[46:47]
	v_add_f64 v[0:1], v[30:31], v[36:37]
	s_delay_alu instid0(VALU_DEP_1) | instskip(NEXT) | instid1(VALU_DEP_3)
	v_add_f64 v[10:11], v[0:1], v[44:45]
	v_add_f64 v[0:1], v[4:5], v[8:9]
	v_add_f64 v[4:5], v[4:5], -v[8:9]
	v_add_f64 v[8:9], v[38:39], v[46:47]
	s_delay_alu instid0(VALU_DEP_4) | instskip(SKIP_2) | instid1(VALU_DEP_4)
	v_add_f64 v[2:3], v[6:7], v[10:11]
	v_add_f64 v[6:7], v[6:7], -v[10:11]
	v_add_f64 v[10:11], v[36:37], v[44:45]
	v_fma_f64 v[28:29], v[8:9], -0.5, v[28:29]
	s_delay_alu instid0(VALU_DEP_2) | instskip(SKIP_1) | instid1(VALU_DEP_2)
	v_fma_f64 v[22:23], v[10:11], -0.5, v[30:31]
	v_add_f64 v[30:31], v[36:37], -v[44:45]
	v_fma_f64 v[8:9], v[20:21], s[26:27], v[22:23]
	s_delay_alu instid0(VALU_DEP_2) | instskip(SKIP_2) | instid1(VALU_DEP_4)
	v_fma_f64 v[12:13], v[30:31], s[28:29], v[28:29]
	v_fma_f64 v[20:21], v[20:21], s[28:29], v[22:23]
	;; [unrolled: 1-line block ×3, first 2 shown]
	v_mul_f64 v[10:11], v[8:9], s[28:29]
	v_mul_f64 v[8:9], v[8:9], 0.5
	s_delay_alu instid0(VALU_DEP_2) | instskip(NEXT) | instid1(VALU_DEP_2)
	v_fma_f64 v[14:15], v[12:13], 0.5, v[10:11]
	v_fma_f64 v[32:33], v[12:13], s[26:27], v[8:9]
	v_fma_f64 v[12:13], v[24:25], s[28:29], v[16:17]
	;; [unrolled: 1-line block ×4, first 2 shown]
	v_mul_f64 v[18:19], v[20:21], s[28:29]
	v_mul_f64 v[20:21], v[20:21], -0.5
	v_add_f64 v[10:11], v[34:35], v[32:33]
	v_add_f64 v[8:9], v[12:13], v[14:15]
	v_add_f64 v[12:13], v[12:13], -v[14:15]
	v_add_f64 v[14:15], v[34:35], -v[32:33]
	v_fma_f64 v[26:27], v[16:17], -0.5, v[18:19]
	v_fma_f64 v[28:29], v[16:17], s[26:27], v[20:21]
	s_delay_alu instid0(VALU_DEP_2) | instskip(NEXT) | instid1(VALU_DEP_2)
	v_add_f64 v[16:17], v[22:23], v[26:27]
	v_add_f64 v[18:19], v[24:25], v[28:29]
	v_add_f64 v[20:21], v[22:23], -v[26:27]
	v_add_f64 v[22:23], v[24:25], -v[28:29]
	scratch_load_b32 v24, off, off offset:944 ; 4-byte Folded Reload
	s_waitcnt vmcnt(0)
	ds_store_b128 v24, v[0:3]
	ds_store_b128 v24, v[8:11] offset:160
	ds_store_b128 v24, v[16:19] offset:320
	;; [unrolled: 1-line block ×5, first 2 shown]
	s_waitcnt lgkmcnt(0)
	s_barrier
	buffer_gl0_inv
	s_clause 0x1
	scratch_load_b128 v[6:9], off, off offset:964
	scratch_load_b128 v[10:13], off, off offset:980
	ds_load_b128 v[0:3], v254 offset:30720
	scratch_load_b128 v[68:71], off, off offset:1188 ; 16-byte Folded Reload
	s_waitcnt vmcnt(2) lgkmcnt(0)
	v_mul_f64 v[4:5], v[8:9], v[2:3]
	s_delay_alu instid0(VALU_DEP_1) | instskip(SKIP_1) | instid1(VALU_DEP_1)
	v_fma_f64 v[4:5], v[6:7], v[0:1], v[4:5]
	v_mul_f64 v[0:1], v[8:9], v[0:1]
	v_fma_f64 v[6:7], v[6:7], v[2:3], -v[0:1]
	ds_load_b128 v[0:3], v254 offset:32768
	s_waitcnt vmcnt(1) lgkmcnt(0)
	v_mul_f64 v[8:9], v[12:13], v[2:3]
	s_delay_alu instid0(VALU_DEP_1) | instskip(SKIP_1) | instid1(VALU_DEP_1)
	v_fma_f64 v[64:65], v[10:11], v[0:1], v[8:9]
	v_mul_f64 v[0:1], v[12:13], v[0:1]
	v_fma_f64 v[66:67], v[10:11], v[2:3], -v[0:1]
	scratch_load_b128 v[10:13], off, off offset:996 ; 16-byte Folded Reload
	ds_load_b128 v[0:3], v254 offset:34816
	s_waitcnt vmcnt(0) lgkmcnt(0)
	v_mul_f64 v[8:9], v[12:13], v[2:3]
	s_delay_alu instid0(VALU_DEP_1) | instskip(SKIP_1) | instid1(VALU_DEP_1)
	v_fma_f64 v[60:61], v[10:11], v[0:1], v[8:9]
	v_mul_f64 v[0:1], v[12:13], v[0:1]
	v_fma_f64 v[62:63], v[10:11], v[2:3], -v[0:1]
	scratch_load_b128 v[10:13], off, off offset:1012 ; 16-byte Folded Reload
	;; [unrolled: 8-line block ×12, first 2 shown]
	ds_load_b128 v[0:3], v254 offset:57344
	s_waitcnt vmcnt(0) lgkmcnt(0)
	v_mul_f64 v[8:9], v[12:13], v[2:3]
	s_delay_alu instid0(VALU_DEP_1) | instskip(SKIP_1) | instid1(VALU_DEP_1)
	v_fma_f64 v[16:17], v[10:11], v[0:1], v[8:9]
	v_mul_f64 v[0:1], v[12:13], v[0:1]
	v_fma_f64 v[18:19], v[10:11], v[2:3], -v[0:1]
	ds_load_b128 v[0:3], v254 offset:59392
	s_waitcnt lgkmcnt(0)
	v_mul_f64 v[8:9], v[70:71], v[2:3]
	s_delay_alu instid0(VALU_DEP_1) | instskip(SKIP_1) | instid1(VALU_DEP_1)
	v_fma_f64 v[12:13], v[68:69], v[0:1], v[8:9]
	v_mul_f64 v[0:1], v[70:71], v[0:1]
	v_fma_f64 v[14:15], v[68:69], v[2:3], -v[0:1]
	ds_load_b128 v[0:3], v254
	s_waitcnt lgkmcnt(0)
	v_add_f64 v[4:5], v[0:1], -v[4:5]
	v_add_f64 v[6:7], v[2:3], -v[6:7]
	s_delay_alu instid0(VALU_DEP_2) | instskip(NEXT) | instid1(VALU_DEP_2)
	v_fma_f64 v[8:9], v[0:1], 2.0, -v[4:5]
	v_fma_f64 v[10:11], v[2:3], 2.0, -v[6:7]
	ds_load_b128 v[0:3], v254 offset:2048
	ds_load_b128 v[68:71], v254 offset:28672
	ds_load_b128 v[72:75], v254 offset:4096
	ds_load_b128 v[76:79], v254 offset:6144
	ds_load_b128 v[80:83], v254 offset:8192
	ds_load_b128 v[84:87], v254 offset:10240
	ds_load_b128 v[88:91], v254 offset:12288
	ds_load_b128 v[92:95], v254 offset:14336
	ds_load_b128 v[96:99], v254 offset:16384
	ds_load_b128 v[100:103], v254 offset:18432
	ds_load_b128 v[104:107], v254 offset:20480
	ds_load_b128 v[108:111], v254 offset:22528
	ds_load_b128 v[112:115], v254 offset:24576
	ds_load_b128 v[116:119], v254 offset:26624
	s_waitcnt lgkmcnt(0)
	s_barrier
	buffer_gl0_inv
	scratch_load_b32 v120, off, off offset:1244 ; 4-byte Folded Reload
	s_waitcnt vmcnt(0)
	ds_store_b128 v120, v[4:7] offset:960
	ds_store_b128 v120, v[8:11]
	scratch_load_b32 v8, off, off offset:1260 ; 4-byte Folded Reload
	v_add_f64 v[4:5], v[0:1], -v[64:65]
	v_add_f64 v[6:7], v[2:3], -v[66:67]
	s_delay_alu instid0(VALU_DEP_2) | instskip(NEXT) | instid1(VALU_DEP_2)
	v_fma_f64 v[0:1], v[0:1], 2.0, -v[4:5]
	v_fma_f64 v[2:3], v[2:3], 2.0, -v[6:7]
	s_waitcnt vmcnt(0)
	ds_store_b128 v8, v[0:3]
	ds_store_b128 v8, v[4:7] offset:960
	scratch_load_b32 v8, off, off offset:1256 ; 4-byte Folded Reload
	v_add_f64 v[0:1], v[72:73], -v[60:61]
	v_add_f64 v[2:3], v[74:75], -v[62:63]
	s_delay_alu instid0(VALU_DEP_2) | instskip(NEXT) | instid1(VALU_DEP_2)
	v_fma_f64 v[4:5], v[72:73], 2.0, -v[0:1]
	v_fma_f64 v[6:7], v[74:75], 2.0, -v[2:3]
	s_waitcnt vmcnt(0)
	ds_store_b128 v8, v[4:7]
	ds_store_b128 v8, v[0:3] offset:960
	;; [unrolled: 9-line block ×14, first 2 shown]
	s_waitcnt lgkmcnt(0)
	s_barrier
	buffer_gl0_inv
	s_clause 0x1
	scratch_load_b128 v[6:9], off, off offset:1264
	scratch_load_b128 v[10:13], off, off offset:1280
	ds_load_b128 v[0:3], v254 offset:30720
	scratch_load_b128 v[68:71], off, off offset:1488 ; 16-byte Folded Reload
	s_waitcnt vmcnt(2) lgkmcnt(0)
	v_mul_f64 v[4:5], v[8:9], v[2:3]
	s_delay_alu instid0(VALU_DEP_1) | instskip(SKIP_1) | instid1(VALU_DEP_1)
	v_fma_f64 v[4:5], v[6:7], v[0:1], v[4:5]
	v_mul_f64 v[0:1], v[8:9], v[0:1]
	v_fma_f64 v[6:7], v[6:7], v[2:3], -v[0:1]
	ds_load_b128 v[0:3], v254 offset:32768
	s_waitcnt vmcnt(1) lgkmcnt(0)
	v_mul_f64 v[8:9], v[12:13], v[2:3]
	s_delay_alu instid0(VALU_DEP_1) | instskip(SKIP_1) | instid1(VALU_DEP_1)
	v_fma_f64 v[64:65], v[10:11], v[0:1], v[8:9]
	v_mul_f64 v[0:1], v[12:13], v[0:1]
	v_fma_f64 v[66:67], v[10:11], v[2:3], -v[0:1]
	scratch_load_b128 v[10:13], off, off offset:1296 ; 16-byte Folded Reload
	ds_load_b128 v[0:3], v254 offset:34816
	s_waitcnt vmcnt(0) lgkmcnt(0)
	v_mul_f64 v[8:9], v[12:13], v[2:3]
	s_delay_alu instid0(VALU_DEP_1) | instskip(SKIP_1) | instid1(VALU_DEP_1)
	v_fma_f64 v[60:61], v[10:11], v[0:1], v[8:9]
	v_mul_f64 v[0:1], v[12:13], v[0:1]
	v_fma_f64 v[62:63], v[10:11], v[2:3], -v[0:1]
	scratch_load_b128 v[10:13], off, off offset:1312 ; 16-byte Folded Reload
	;; [unrolled: 8-line block ×12, first 2 shown]
	ds_load_b128 v[0:3], v254 offset:57344
	s_waitcnt vmcnt(0) lgkmcnt(0)
	v_mul_f64 v[8:9], v[12:13], v[2:3]
	s_delay_alu instid0(VALU_DEP_1) | instskip(SKIP_1) | instid1(VALU_DEP_1)
	v_fma_f64 v[16:17], v[10:11], v[0:1], v[8:9]
	v_mul_f64 v[0:1], v[12:13], v[0:1]
	v_fma_f64 v[18:19], v[10:11], v[2:3], -v[0:1]
	ds_load_b128 v[0:3], v254 offset:59392
	s_waitcnt lgkmcnt(0)
	v_mul_f64 v[8:9], v[70:71], v[2:3]
	s_delay_alu instid0(VALU_DEP_1) | instskip(SKIP_1) | instid1(VALU_DEP_1)
	v_fma_f64 v[12:13], v[68:69], v[0:1], v[8:9]
	v_mul_f64 v[0:1], v[70:71], v[0:1]
	v_fma_f64 v[14:15], v[68:69], v[2:3], -v[0:1]
	ds_load_b128 v[0:3], v254
	s_waitcnt lgkmcnt(0)
	v_add_f64 v[4:5], v[0:1], -v[4:5]
	v_add_f64 v[6:7], v[2:3], -v[6:7]
	s_delay_alu instid0(VALU_DEP_2) | instskip(NEXT) | instid1(VALU_DEP_2)
	v_fma_f64 v[8:9], v[0:1], 2.0, -v[4:5]
	v_fma_f64 v[10:11], v[2:3], 2.0, -v[6:7]
	ds_load_b128 v[0:3], v254 offset:2048
	ds_load_b128 v[68:71], v254 offset:28672
	;; [unrolled: 1-line block ×14, first 2 shown]
	s_waitcnt lgkmcnt(0)
	s_barrier
	buffer_gl0_inv
	scratch_load_b32 v120, off, off offset:1544 ; 4-byte Folded Reload
	s_waitcnt vmcnt(0)
	ds_store_b128 v120, v[4:7] offset:1920
	ds_store_b128 v120, v[8:11]
	scratch_load_b32 v8, off, off offset:1560 ; 4-byte Folded Reload
	v_add_f64 v[4:5], v[0:1], -v[64:65]
	v_add_f64 v[6:7], v[2:3], -v[66:67]
	s_delay_alu instid0(VALU_DEP_2) | instskip(NEXT) | instid1(VALU_DEP_2)
	v_fma_f64 v[0:1], v[0:1], 2.0, -v[4:5]
	v_fma_f64 v[2:3], v[2:3], 2.0, -v[6:7]
	s_waitcnt vmcnt(0)
	ds_store_b128 v8, v[0:3]
	ds_store_b128 v8, v[4:7] offset:1920
	scratch_load_b32 v8, off, off offset:1556 ; 4-byte Folded Reload
	v_add_f64 v[0:1], v[72:73], -v[60:61]
	v_add_f64 v[2:3], v[74:75], -v[62:63]
	s_delay_alu instid0(VALU_DEP_2) | instskip(NEXT) | instid1(VALU_DEP_2)
	v_fma_f64 v[4:5], v[72:73], 2.0, -v[0:1]
	v_fma_f64 v[6:7], v[74:75], 2.0, -v[2:3]
	s_waitcnt vmcnt(0)
	ds_store_b128 v8, v[4:7]
	ds_store_b128 v8, v[0:3] offset:1920
	;; [unrolled: 9-line block ×14, first 2 shown]
	s_waitcnt lgkmcnt(0)
	s_barrier
	buffer_gl0_inv
	s_clause 0x1
	scratch_load_b128 v[6:9], off, off offset:1564
	scratch_load_b128 v[14:17], off, off offset:1580
	ds_load_b128 v[0:3], v254 offset:30720
	s_waitcnt vmcnt(1) lgkmcnt(0)
	v_mul_f64 v[4:5], v[8:9], v[2:3]
	s_delay_alu instid0(VALU_DEP_1) | instskip(SKIP_1) | instid1(VALU_DEP_1)
	v_fma_f64 v[4:5], v[6:7], v[0:1], v[4:5]
	v_mul_f64 v[0:1], v[8:9], v[0:1]
	v_fma_f64 v[6:7], v[6:7], v[2:3], -v[0:1]
	ds_load_b128 v[0:3], v254 offset:32768
	s_waitcnt vmcnt(0) lgkmcnt(0)
	v_mul_f64 v[8:9], v[16:17], v[2:3]
	s_delay_alu instid0(VALU_DEP_1)
	v_fma_f64 v[12:13], v[14:15], v[0:1], v[8:9]
	v_mul_f64 v[0:1], v[16:17], v[0:1]
	scratch_load_b128 v[16:19], off, off offset:1596 ; 16-byte Folded Reload
	v_fma_f64 v[14:15], v[14:15], v[2:3], -v[0:1]
	ds_load_b128 v[0:3], v254 offset:34816
	s_waitcnt vmcnt(0) lgkmcnt(0)
	v_mul_f64 v[8:9], v[18:19], v[2:3]
	s_delay_alu instid0(VALU_DEP_1) | instskip(SKIP_1) | instid1(VALU_DEP_1)
	v_fma_f64 v[64:65], v[16:17], v[0:1], v[8:9]
	v_mul_f64 v[0:1], v[18:19], v[0:1]
	v_fma_f64 v[66:67], v[16:17], v[2:3], -v[0:1]
	scratch_load_b128 v[16:19], off, off offset:1612 ; 16-byte Folded Reload
	ds_load_b128 v[0:3], v254 offset:36864
	s_waitcnt vmcnt(0) lgkmcnt(0)
	v_mul_f64 v[8:9], v[18:19], v[2:3]
	s_delay_alu instid0(VALU_DEP_1) | instskip(SKIP_1) | instid1(VALU_DEP_1)
	v_fma_f64 v[68:69], v[16:17], v[0:1], v[8:9]
	v_mul_f64 v[0:1], v[18:19], v[0:1]
	v_fma_f64 v[70:71], v[16:17], v[2:3], -v[0:1]
	scratch_load_b128 v[16:19], off, off offset:1628 ; 16-byte Folded Reload
	;; [unrolled: 8-line block ×12, first 2 shown]
	ds_load_b128 v[0:3], v254 offset:59392
	s_waitcnt vmcnt(0) lgkmcnt(0)
	v_mul_f64 v[8:9], v[18:19], v[2:3]
	s_delay_alu instid0(VALU_DEP_1) | instskip(SKIP_1) | instid1(VALU_DEP_1)
	v_fma_f64 v[20:21], v[16:17], v[0:1], v[8:9]
	v_mul_f64 v[0:1], v[18:19], v[0:1]
	v_fma_f64 v[22:23], v[16:17], v[2:3], -v[0:1]
	ds_load_b128 v[0:3], v254
	s_waitcnt lgkmcnt(0)
	v_add_f64 v[8:9], v[0:1], -v[4:5]
	v_add_f64 v[10:11], v[2:3], -v[6:7]
	s_delay_alu instid0(VALU_DEP_2) | instskip(NEXT) | instid1(VALU_DEP_2)
	v_fma_f64 v[16:17], v[0:1], 2.0, -v[8:9]
	v_fma_f64 v[18:19], v[2:3], 2.0, -v[10:11]
	ds_load_b128 v[0:3], v254 offset:2048
	s_waitcnt lgkmcnt(0)
	v_add_f64 v[4:5], v[0:1], -v[12:13]
	v_add_f64 v[6:7], v[2:3], -v[14:15]
	s_delay_alu instid0(VALU_DEP_2) | instskip(NEXT) | instid1(VALU_DEP_2)
	v_fma_f64 v[12:13], v[0:1], 2.0, -v[4:5]
	v_fma_f64 v[14:15], v[2:3], 2.0, -v[6:7]
	ds_load_b128 v[0:3], v254 offset:4096
	ds_load_b128 v[72:75], v254 offset:28672
	;; [unrolled: 1-line block ×13, first 2 shown]
	s_waitcnt lgkmcnt(0)
	s_barrier
	buffer_gl0_inv
	ds_store_b128 v254, v[8:11] offset:3840
	ds_store_b128 v254, v[16:19]
	scratch_load_b32 v8, off, off offset:1852 ; 4-byte Folded Reload
	s_waitcnt vmcnt(0)
	ds_store_b128 v8, v[12:15]
	ds_store_b128 v8, v[4:7] offset:3840
	v_add_f64 v[4:5], v[0:1], -v[64:65]
	v_add_f64 v[6:7], v[2:3], -v[66:67]
	;; [unrolled: 1-line block ×4, first 2 shown]
	s_delay_alu instid0(VALU_DEP_4) | instskip(NEXT) | instid1(VALU_DEP_4)
	v_fma_f64 v[0:1], v[0:1], 2.0, -v[4:5]
	v_fma_f64 v[2:3], v[2:3], 2.0, -v[6:7]
	ds_store_b128 v254, v[0:3] offset:7936
	ds_store_b128 v254, v[4:7] offset:11776
	scratch_load_b32 v0, off, off offset:1848 ; 4-byte Folded Reload
	v_fma_f64 v[12:13], v[76:77], 2.0, -v[8:9]
	v_fma_f64 v[14:15], v[78:79], 2.0, -v[10:11]
	s_waitcnt vmcnt(0)
	ds_store_b128 v0, v[12:15]
	ds_store_b128 v0, v[8:11] offset:3840
	scratch_load_b32 v8, off, off offset:1844 ; 4-byte Folded Reload
	v_add_f64 v[0:1], v[80:81], -v[60:61]
	v_add_f64 v[2:3], v[82:83], -v[62:63]
	s_delay_alu instid0(VALU_DEP_2) | instskip(NEXT) | instid1(VALU_DEP_2)
	v_fma_f64 v[4:5], v[80:81], 2.0, -v[0:1]
	v_fma_f64 v[6:7], v[82:83], 2.0, -v[2:3]
	s_waitcnt vmcnt(0)
	ds_store_b128 v8, v[4:7] offset:15360
	ds_store_b128 v8, v[0:3] offset:19200
	scratch_load_b32 v8, off, off offset:1840 ; 4-byte Folded Reload
	v_add_f64 v[0:1], v[84:85], -v[56:57]
	v_add_f64 v[2:3], v[86:87], -v[58:59]
	s_delay_alu instid0(VALU_DEP_2) | instskip(NEXT) | instid1(VALU_DEP_2)
	v_fma_f64 v[4:5], v[84:85], 2.0, -v[0:1]
	v_fma_f64 v[6:7], v[86:87], 2.0, -v[2:3]
	s_waitcnt vmcnt(0)
	ds_store_b128 v8, v[4:7]
	ds_store_b128 v8, v[0:3] offset:3840
	scratch_load_b32 v8, off, off offset:1836 ; 4-byte Folded Reload
	v_add_f64 v[0:1], v[88:89], -v[52:53]
	v_add_f64 v[2:3], v[90:91], -v[54:55]
	s_delay_alu instid0(VALU_DEP_2) | instskip(NEXT) | instid1(VALU_DEP_2)
	v_fma_f64 v[4:5], v[88:89], 2.0, -v[0:1]
	v_fma_f64 v[6:7], v[90:91], 2.0, -v[2:3]
	s_waitcnt vmcnt(0)
	ds_store_b128 v8, v[4:7] offset:23040
	ds_store_b128 v8, v[0:3] offset:26880
	scratch_load_b32 v8, off, off offset:1832 ; 4-byte Folded Reload
	v_add_f64 v[0:1], v[92:93], -v[48:49]
	v_add_f64 v[2:3], v[94:95], -v[50:51]
	s_delay_alu instid0(VALU_DEP_2) | instskip(NEXT) | instid1(VALU_DEP_2)
	;; [unrolled: 18-line block ×5, first 2 shown]
	v_fma_f64 v[4:5], v[116:117], 2.0, -v[0:1]
	v_fma_f64 v[6:7], v[118:119], 2.0, -v[2:3]
	s_waitcnt vmcnt(0)
	ds_store_b128 v8, v[4:7]
	ds_store_b128 v8, v[0:3] offset:3840
	scratch_load_b32 v8, off, off offset:1804 ; 4-byte Folded Reload
	v_add_f64 v[0:1], v[72:73], -v[20:21]
	v_add_f64 v[2:3], v[74:75], -v[22:23]
	s_delay_alu instid0(VALU_DEP_2) | instskip(NEXT) | instid1(VALU_DEP_2)
	v_fma_f64 v[4:5], v[72:73], 2.0, -v[0:1]
	v_fma_f64 v[6:7], v[74:75], 2.0, -v[2:3]
	s_waitcnt vmcnt(0)
	ds_store_b128 v8, v[4:7] offset:53760
	ds_store_b128 v8, v[0:3] offset:57600
	s_waitcnt lgkmcnt(0)
	s_barrier
	buffer_gl0_inv
	s_clause 0x3
	scratch_load_b128 v[6:9], off, off offset:1856
	scratch_load_b128 v[10:13], off, off offset:1872
	;; [unrolled: 1-line block ×4, first 2 shown]
	ds_load_b128 v[0:3], v254 offset:30720
	s_waitcnt vmcnt(3) lgkmcnt(0)
	v_mul_f64 v[4:5], v[8:9], v[2:3]
	s_delay_alu instid0(VALU_DEP_1) | instskip(SKIP_1) | instid1(VALU_DEP_1)
	v_fma_f64 v[4:5], v[6:7], v[0:1], v[4:5]
	v_mul_f64 v[0:1], v[8:9], v[0:1]
	v_fma_f64 v[6:7], v[6:7], v[2:3], -v[0:1]
	ds_load_b128 v[0:3], v254 offset:32768
	s_waitcnt vmcnt(2) lgkmcnt(0)
	v_mul_f64 v[8:9], v[12:13], v[2:3]
	s_delay_alu instid0(VALU_DEP_1) | instskip(SKIP_1) | instid1(VALU_DEP_1)
	v_fma_f64 v[8:9], v[10:11], v[0:1], v[8:9]
	v_mul_f64 v[0:1], v[12:13], v[0:1]
	v_fma_f64 v[10:11], v[10:11], v[2:3], -v[0:1]
	;; [unrolled: 7-line block ×4, first 2 shown]
	scratch_load_b128 v[18:21], off, off offset:1920 ; 16-byte Folded Reload
	ds_load_b128 v[0:3], v254 offset:38912
	s_waitcnt vmcnt(0) lgkmcnt(0)
	v_mul_f64 v[16:17], v[20:21], v[2:3]
	s_delay_alu instid0(VALU_DEP_1) | instskip(SKIP_1) | instid1(VALU_DEP_1)
	v_fma_f64 v[60:61], v[18:19], v[0:1], v[16:17]
	v_mul_f64 v[0:1], v[20:21], v[0:1]
	v_fma_f64 v[62:63], v[18:19], v[2:3], -v[0:1]
	scratch_load_b128 v[18:21], off, off offset:1936 ; 16-byte Folded Reload
	ds_load_b128 v[0:3], v254 offset:40960
	s_waitcnt vmcnt(0) lgkmcnt(0)
	v_mul_f64 v[16:17], v[20:21], v[2:3]
	s_delay_alu instid0(VALU_DEP_1) | instskip(SKIP_1) | instid1(VALU_DEP_1)
	v_fma_f64 v[64:65], v[18:19], v[0:1], v[16:17]
	v_mul_f64 v[0:1], v[20:21], v[0:1]
	v_fma_f64 v[66:67], v[18:19], v[2:3], -v[0:1]
	scratch_load_b128 v[18:21], off, off offset:1952 ; 16-byte Folded Reload
	ds_load_b128 v[0:3], v254 offset:43008
	s_waitcnt vmcnt(0) lgkmcnt(0)
	v_mul_f64 v[16:17], v[20:21], v[2:3]
	s_delay_alu instid0(VALU_DEP_1) | instskip(SKIP_1) | instid1(VALU_DEP_1)
	v_fma_f64 v[68:69], v[18:19], v[0:1], v[16:17]
	v_mul_f64 v[0:1], v[20:21], v[0:1]
	v_fma_f64 v[70:71], v[18:19], v[2:3], -v[0:1]
	scratch_load_b128 v[18:21], off, off offset:1968 ; 16-byte Folded Reload
	ds_load_b128 v[0:3], v254 offset:45056
	s_waitcnt vmcnt(0) lgkmcnt(0)
	v_mul_f64 v[16:17], v[20:21], v[2:3]
	s_delay_alu instid0(VALU_DEP_1) | instskip(SKIP_1) | instid1(VALU_DEP_1)
	v_fma_f64 v[72:73], v[18:19], v[0:1], v[16:17]
	v_mul_f64 v[0:1], v[20:21], v[0:1]
	v_fma_f64 v[74:75], v[18:19], v[2:3], -v[0:1]
	scratch_load_b128 v[18:21], off, off offset:1984 ; 16-byte Folded Reload
	ds_load_b128 v[0:3], v254 offset:47104
	s_waitcnt vmcnt(0) lgkmcnt(0)
	v_mul_f64 v[16:17], v[20:21], v[2:3]
	s_delay_alu instid0(VALU_DEP_1) | instskip(SKIP_1) | instid1(VALU_DEP_1)
	v_fma_f64 v[56:57], v[18:19], v[0:1], v[16:17]
	v_mul_f64 v[0:1], v[20:21], v[0:1]
	v_fma_f64 v[58:59], v[18:19], v[2:3], -v[0:1]
	scratch_load_b128 v[18:21], off, off offset:2000 ; 16-byte Folded Reload
	ds_load_b128 v[0:3], v254 offset:49152
	s_waitcnt vmcnt(0) lgkmcnt(0)
	v_mul_f64 v[16:17], v[20:21], v[2:3]
	s_delay_alu instid0(VALU_DEP_1) | instskip(SKIP_1) | instid1(VALU_DEP_1)
	v_fma_f64 v[52:53], v[18:19], v[0:1], v[16:17]
	v_mul_f64 v[0:1], v[20:21], v[0:1]
	v_fma_f64 v[54:55], v[18:19], v[2:3], -v[0:1]
	scratch_load_b128 v[18:21], off, off offset:2016 ; 16-byte Folded Reload
	ds_load_b128 v[0:3], v254 offset:51200
	s_waitcnt vmcnt(0) lgkmcnt(0)
	v_mul_f64 v[16:17], v[20:21], v[2:3]
	s_delay_alu instid0(VALU_DEP_1) | instskip(SKIP_1) | instid1(VALU_DEP_1)
	v_fma_f64 v[48:49], v[18:19], v[0:1], v[16:17]
	v_mul_f64 v[0:1], v[20:21], v[0:1]
	v_fma_f64 v[50:51], v[18:19], v[2:3], -v[0:1]
	scratch_load_b128 v[18:21], off, off offset:2032 ; 16-byte Folded Reload
	ds_load_b128 v[0:3], v254 offset:53248
	s_waitcnt vmcnt(0) lgkmcnt(0)
	v_mul_f64 v[16:17], v[20:21], v[2:3]
	s_delay_alu instid0(VALU_DEP_1) | instskip(SKIP_1) | instid1(VALU_DEP_1)
	v_fma_f64 v[44:45], v[18:19], v[0:1], v[16:17]
	v_mul_f64 v[0:1], v[20:21], v[0:1]
	v_fma_f64 v[46:47], v[18:19], v[2:3], -v[0:1]
	scratch_load_b128 v[18:21], off, off offset:2048 ; 16-byte Folded Reload
	ds_load_b128 v[0:3], v254 offset:55296
	s_waitcnt vmcnt(0) lgkmcnt(0)
	v_mul_f64 v[16:17], v[20:21], v[2:3]
	s_delay_alu instid0(VALU_DEP_1) | instskip(SKIP_1) | instid1(VALU_DEP_1)
	v_fma_f64 v[40:41], v[18:19], v[0:1], v[16:17]
	v_mul_f64 v[0:1], v[20:21], v[0:1]
	v_fma_f64 v[42:43], v[18:19], v[2:3], -v[0:1]
	scratch_load_b128 v[18:21], off, off offset:2064 ; 16-byte Folded Reload
	ds_load_b128 v[0:3], v254 offset:57344
	s_waitcnt vmcnt(0) lgkmcnt(0)
	v_mul_f64 v[16:17], v[20:21], v[2:3]
	s_delay_alu instid0(VALU_DEP_1) | instskip(SKIP_1) | instid1(VALU_DEP_1)
	v_fma_f64 v[36:37], v[18:19], v[0:1], v[16:17]
	v_mul_f64 v[0:1], v[20:21], v[0:1]
	v_fma_f64 v[38:39], v[18:19], v[2:3], -v[0:1]
	scratch_load_b128 v[18:21], off, off offset:2080 ; 16-byte Folded Reload
	ds_load_b128 v[0:3], v254 offset:59392
	s_waitcnt vmcnt(0) lgkmcnt(0)
	v_mul_f64 v[16:17], v[20:21], v[2:3]
	s_delay_alu instid0(VALU_DEP_1) | instskip(SKIP_1) | instid1(VALU_DEP_1)
	v_fma_f64 v[32:33], v[18:19], v[0:1], v[16:17]
	v_mul_f64 v[0:1], v[20:21], v[0:1]
	v_fma_f64 v[34:35], v[18:19], v[2:3], -v[0:1]
	ds_load_b128 v[0:3], v254
	s_waitcnt lgkmcnt(0)
	v_add_f64 v[28:29], v[0:1], -v[4:5]
	v_add_f64 v[30:31], v[2:3], -v[6:7]
	ds_load_b128 v[4:7], v254 offset:2048
	s_waitcnt lgkmcnt(0)
	v_add_f64 v[24:25], v[4:5], -v[8:9]
	v_add_f64 v[26:27], v[6:7], -v[10:11]
	v_fma_f64 v[0:1], v[0:1], 2.0, -v[28:29]
	v_fma_f64 v[2:3], v[2:3], 2.0, -v[30:31]
	s_delay_alu instid0(VALU_DEP_4) | instskip(NEXT) | instid1(VALU_DEP_4)
	v_fma_f64 v[8:9], v[4:5], 2.0, -v[24:25]
	v_fma_f64 v[10:11], v[6:7], 2.0, -v[26:27]
	ds_load_b128 v[4:7], v254 offset:4096
	s_waitcnt lgkmcnt(0)
	v_add_f64 v[20:21], v[4:5], -v[12:13]
	v_add_f64 v[22:23], v[6:7], -v[14:15]
	ds_load_b128 v[12:15], v254 offset:6144
	v_fma_f64 v[16:17], v[4:5], 2.0, -v[20:21]
	v_fma_f64 v[18:19], v[6:7], 2.0, -v[22:23]
	s_waitcnt lgkmcnt(0)
	v_add_f64 v[4:5], v[12:13], -v[76:77]
	v_add_f64 v[6:7], v[14:15], -v[78:79]
	ds_load_b128 v[76:79], v254 offset:28672
	ds_load_b128 v[80:83], v254 offset:8192
	;; [unrolled: 1-line block ×11, first 2 shown]
	s_waitcnt lgkmcnt(0)
	s_barrier
	buffer_gl0_inv
	ds_store_b128 v254, v[28:31] offset:7680
	ds_store_b128 v254, v[24:27] offset:9728
	;; [unrolled: 1-line block ×3, first 2 shown]
	ds_store_b128 v254, v[0:3]
	ds_store_b128 v254, v[8:11] offset:2048
	ds_store_b128 v254, v[16:19] offset:4096
	scratch_load_b32 v0, off, off offset:2192 ; 4-byte Folded Reload
	v_add_f64 v[2:3], v[82:83], -v[62:63]
	v_add_f64 v[8:9], v[84:85], -v[64:65]
	;; [unrolled: 1-line block ×4, first 2 shown]
	v_fma_f64 v[12:13], v[12:13], 2.0, -v[4:5]
	v_fma_f64 v[14:15], v[14:15], 2.0, -v[6:7]
	s_waitcnt vmcnt(0)
	ds_store_b128 v0, v[12:15]
	ds_store_b128 v0, v[4:7] offset:7680
	v_add_f64 v[0:1], v[80:81], -v[60:61]
	v_add_f64 v[18:19], v[90:91], -v[70:71]
	v_fma_f64 v[6:7], v[82:83], 2.0, -v[2:3]
	v_fma_f64 v[12:13], v[84:85], 2.0, -v[8:9]
	;; [unrolled: 1-line block ×4, first 2 shown]
	v_add_f64 v[24:25], v[92:93], -v[72:73]
	v_add_f64 v[26:27], v[94:95], -v[74:75]
	v_fma_f64 v[4:5], v[80:81], 2.0, -v[0:1]
	v_fma_f64 v[22:23], v[90:91], 2.0, -v[18:19]
	ds_store_b128 v254, v[4:7] offset:15872
	ds_store_b128 v254, v[12:15] offset:17920
	;; [unrolled: 1-line block ×6, first 2 shown]
	scratch_load_b32 v0, off, off offset:2188 ; 4-byte Folded Reload
	v_fma_f64 v[28:29], v[92:93], 2.0, -v[24:25]
	v_fma_f64 v[30:31], v[94:95], 2.0, -v[26:27]
	s_waitcnt vmcnt(0)
	ds_store_b128 v0, v[28:31]
	ds_store_b128 v0, v[24:27] offset:7680
	scratch_load_b32 v8, off, off offset:2184 ; 4-byte Folded Reload
	v_add_f64 v[0:1], v[96:97], -v[56:57]
	v_add_f64 v[2:3], v[98:99], -v[58:59]
	s_delay_alu instid0(VALU_DEP_2) | instskip(NEXT) | instid1(VALU_DEP_2)
	v_fma_f64 v[4:5], v[96:97], 2.0, -v[0:1]
	v_fma_f64 v[6:7], v[98:99], 2.0, -v[2:3]
	s_waitcnt vmcnt(0)
	ds_store_b128 v8, v[4:7] offset:30720
	ds_store_b128 v8, v[0:3] offset:38400
	scratch_load_b32 v8, off, off offset:2180 ; 4-byte Folded Reload
	v_add_f64 v[0:1], v[100:101], -v[52:53]
	v_add_f64 v[2:3], v[102:103], -v[54:55]
	s_delay_alu instid0(VALU_DEP_2) | instskip(NEXT) | instid1(VALU_DEP_2)
	v_fma_f64 v[4:5], v[100:101], 2.0, -v[0:1]
	v_fma_f64 v[6:7], v[102:103], 2.0, -v[2:3]
	s_waitcnt vmcnt(0)
	ds_store_b128 v8, v[4:7] offset:30720
	;; [unrolled: 9-line block ×3, first 2 shown]
	ds_store_b128 v8, v[0:3] offset:38400
	scratch_load_b32 v8, off, off offset:2172 ; 4-byte Folded Reload
	v_add_f64 v[0:1], v[108:109], -v[44:45]
	v_add_f64 v[2:3], v[110:111], -v[46:47]
	s_delay_alu instid0(VALU_DEP_2) | instskip(NEXT) | instid1(VALU_DEP_2)
	v_fma_f64 v[4:5], v[108:109], 2.0, -v[0:1]
	v_fma_f64 v[6:7], v[110:111], 2.0, -v[2:3]
	s_waitcnt vmcnt(0)
	ds_store_b128 v8, v[4:7]
	ds_store_b128 v8, v[0:3] offset:7680
	scratch_load_b32 v8, off, off offset:2168 ; 4-byte Folded Reload
	v_add_f64 v[0:1], v[112:113], -v[40:41]
	v_add_f64 v[2:3], v[114:115], -v[42:43]
	s_delay_alu instid0(VALU_DEP_2) | instskip(NEXT) | instid1(VALU_DEP_2)
	v_fma_f64 v[4:5], v[112:113], 2.0, -v[0:1]
	v_fma_f64 v[6:7], v[114:115], 2.0, -v[2:3]
	s_waitcnt vmcnt(0)
	ds_store_b128 v8, v[4:7] offset:46080
	ds_store_b128 v8, v[0:3] offset:53760
	scratch_load_b32 v8, off, off offset:2164 ; 4-byte Folded Reload
	v_add_f64 v[0:1], v[116:117], -v[36:37]
	v_add_f64 v[2:3], v[118:119], -v[38:39]
	s_delay_alu instid0(VALU_DEP_2) | instskip(NEXT) | instid1(VALU_DEP_2)
	v_fma_f64 v[4:5], v[116:117], 2.0, -v[0:1]
	v_fma_f64 v[6:7], v[118:119], 2.0, -v[2:3]
	s_waitcnt vmcnt(0)
	ds_store_b128 v8, v[4:7] offset:46080
	;; [unrolled: 9-line block ×3, first 2 shown]
	ds_store_b128 v8, v[0:3] offset:53760
	s_waitcnt lgkmcnt(0)
	s_barrier
	buffer_gl0_inv
	scratch_load_b128 v[6:9], off, off offset:2196 ; 16-byte Folded Reload
	ds_load_b128 v[0:3], v254 offset:30720
	s_waitcnt vmcnt(0) lgkmcnt(0)
	v_mul_f64 v[4:5], v[8:9], v[2:3]
	s_delay_alu instid0(VALU_DEP_1) | instskip(SKIP_1) | instid1(VALU_DEP_1)
	v_fma_f64 v[4:5], v[6:7], v[0:1], v[4:5]
	v_mul_f64 v[0:1], v[8:9], v[0:1]
	v_fma_f64 v[6:7], v[6:7], v[2:3], -v[0:1]
	ds_load_b128 v[0:3], v254 offset:32768
	s_waitcnt lgkmcnt(0)
	v_mul_f64 v[8:9], v[214:215], v[2:3]
	s_delay_alu instid0(VALU_DEP_1) | instskip(SKIP_1) | instid1(VALU_DEP_1)
	v_fma_f64 v[8:9], v[212:213], v[0:1], v[8:9]
	v_mul_f64 v[0:1], v[214:215], v[0:1]
	v_fma_f64 v[10:11], v[212:213], v[2:3], -v[0:1]
	ds_load_b128 v[0:3], v254 offset:34816
	s_waitcnt lgkmcnt(0)
	;; [unrolled: 7-line block ×14, first 2 shown]
	v_mul_f64 v[32:33], v[146:147], v[2:3]
	s_delay_alu instid0(VALU_DEP_1) | instskip(SKIP_1) | instid1(VALU_DEP_1)
	v_fma_f64 v[88:89], v[144:145], v[0:1], v[32:33]
	v_mul_f64 v[0:1], v[146:147], v[0:1]
	v_fma_f64 v[90:91], v[144:145], v[2:3], -v[0:1]
	ds_load_b128 v[0:3], v254
	s_waitcnt lgkmcnt(0)
	v_add_f64 v[60:61], v[0:1], -v[4:5]
	v_add_f64 v[62:63], v[2:3], -v[6:7]
	ds_load_b128 v[4:7], v254 offset:2048
	s_waitcnt lgkmcnt(0)
	v_add_f64 v[56:57], v[4:5], -v[8:9]
	v_add_f64 v[58:59], v[6:7], -v[10:11]
	ds_load_b128 v[8:11], v254 offset:4096
	v_fma_f64 v[0:1], v[0:1], 2.0, -v[60:61]
	v_fma_f64 v[2:3], v[2:3], 2.0, -v[62:63]
	s_waitcnt lgkmcnt(0)
	v_add_f64 v[52:53], v[8:9], -v[12:13]
	v_add_f64 v[54:55], v[10:11], -v[14:15]
	ds_load_b128 v[12:15], v254 offset:6144
	v_fma_f64 v[4:5], v[4:5], 2.0, -v[56:57]
	v_fma_f64 v[6:7], v[6:7], 2.0, -v[58:59]
	;; [unrolled: 6-line block ×4, first 2 shown]
	s_waitcnt lgkmcnt(0)
	v_add_f64 v[40:41], v[20:21], -v[24:25]
	v_add_f64 v[42:43], v[22:23], -v[26:27]
	v_fma_f64 v[16:17], v[16:17], 2.0, -v[44:45]
	v_fma_f64 v[18:19], v[18:19], 2.0, -v[46:47]
	s_delay_alu instid0(VALU_DEP_4) | instskip(NEXT) | instid1(VALU_DEP_4)
	v_fma_f64 v[24:25], v[20:21], 2.0, -v[40:41]
	v_fma_f64 v[26:27], v[22:23], 2.0, -v[42:43]
	ds_load_b128 v[20:23], v254 offset:12288
	s_waitcnt lgkmcnt(0)
	v_add_f64 v[36:37], v[20:21], -v[28:29]
	v_add_f64 v[38:39], v[22:23], -v[30:31]
	ds_load_b128 v[28:31], v254 offset:14336
	v_fma_f64 v[32:33], v[20:21], 2.0, -v[36:37]
	v_fma_f64 v[34:35], v[22:23], 2.0, -v[38:39]
	s_waitcnt lgkmcnt(0)
	v_add_f64 v[20:21], v[28:29], -v[92:93]
	v_add_f64 v[22:23], v[30:31], -v[94:95]
	ds_load_b128 v[92:95], v254 offset:28672
	ds_load_b128 v[96:99], v254 offset:18432
	;; [unrolled: 1-line block ×7, first 2 shown]
	s_waitcnt lgkmcnt(0)
	s_barrier
	buffer_gl0_inv
	v_fma_f64 v[28:29], v[28:29], 2.0, -v[20:21]
	v_fma_f64 v[30:31], v[30:31], 2.0, -v[22:23]
	ds_store_b128 v254, v[60:63] offset:15360
	ds_store_b128 v254, v[56:59] offset:17408
	;; [unrolled: 1-line block ×7, first 2 shown]
	ds_store_b128 v254, v[0:3]
	ds_store_b128 v254, v[4:7] offset:2048
	ds_store_b128 v254, v[8:11] offset:4096
	;; [unrolled: 1-line block ×6, first 2 shown]
	ds_store_b128 v172, v[28:31]
	ds_store_b128 v172, v[20:23] offset:15360
	v_add_f64 v[0:1], v[96:97], -v[68:69]
	v_add_f64 v[2:3], v[98:99], -v[70:71]
	;; [unrolled: 1-line block ×14, first 2 shown]
	v_fma_f64 v[4:5], v[96:97], 2.0, -v[0:1]
	v_fma_f64 v[6:7], v[98:99], 2.0, -v[2:3]
	;; [unrolled: 1-line block ×14, first 2 shown]
	ds_store_b128 v254, v[48:51] offset:47104
	ds_store_b128 v254, v[0:3] offset:49152
	;; [unrolled: 1-line block ×14, first 2 shown]
	s_waitcnt lgkmcnt(0)
	s_barrier
	buffer_gl0_inv
	s_clause 0x1
	scratch_load_b128 v[14:17], off, off offset:2096
	scratch_load_b128 v[18:21], off, off offset:2112
	ds_load_b128 v[2:5], v254 offset:30720
	ds_load_b128 v[112:115], v254 offset:28672
	scratch_load_b128 v[26:29], off, off offset:2128 ; 16-byte Folded Reload
	s_waitcnt lgkmcnt(1)
	v_mul_f64 v[0:1], v[142:143], v[4:5]
	s_delay_alu instid0(VALU_DEP_1) | instskip(SKIP_1) | instid1(VALU_DEP_1)
	v_fma_f64 v[0:1], v[140:141], v[2:3], v[0:1]
	v_mul_f64 v[2:3], v[142:143], v[2:3]
	v_fma_f64 v[2:3], v[140:141], v[4:5], -v[2:3]
	ds_load_b128 v[4:7], v254 offset:32768
	s_waitcnt lgkmcnt(0)
	v_mul_f64 v[8:9], v[246:247], v[6:7]
	s_delay_alu instid0(VALU_DEP_1) | instskip(SKIP_1) | instid1(VALU_DEP_1)
	v_fma_f64 v[8:9], v[244:245], v[4:5], v[8:9]
	v_mul_f64 v[4:5], v[246:247], v[4:5]
	v_fma_f64 v[10:11], v[244:245], v[6:7], -v[4:5]
	ds_load_b128 v[4:7], v254 offset:34816
	s_waitcnt vmcnt(2) lgkmcnt(0)
	v_mul_f64 v[12:13], v[16:17], v[6:7]
	s_delay_alu instid0(VALU_DEP_1) | instskip(SKIP_1) | instid1(VALU_DEP_1)
	v_fma_f64 v[12:13], v[14:15], v[4:5], v[12:13]
	v_mul_f64 v[4:5], v[16:17], v[4:5]
	v_fma_f64 v[14:15], v[14:15], v[6:7], -v[4:5]
	ds_load_b128 v[4:7], v254 offset:36864
	s_waitcnt vmcnt(1) lgkmcnt(0)
	;; [unrolled: 7-line block ×3, first 2 shown]
	v_mul_f64 v[20:21], v[28:29], v[6:7]
	s_delay_alu instid0(VALU_DEP_1)
	v_fma_f64 v[24:25], v[26:27], v[4:5], v[20:21]
	v_mul_f64 v[4:5], v[28:29], v[4:5]
	scratch_load_b128 v[28:31], off, off offset:2144 ; 16-byte Folded Reload
	v_fma_f64 v[26:27], v[26:27], v[6:7], -v[4:5]
	ds_load_b128 v[4:7], v254 offset:40960
	s_waitcnt vmcnt(0) lgkmcnt(0)
	v_mul_f64 v[20:21], v[30:31], v[6:7]
	s_delay_alu instid0(VALU_DEP_1) | instskip(SKIP_1) | instid1(VALU_DEP_1)
	v_fma_f64 v[32:33], v[28:29], v[4:5], v[20:21]
	v_mul_f64 v[4:5], v[30:31], v[4:5]
	v_fma_f64 v[34:35], v[28:29], v[6:7], -v[4:5]
	ds_load_b128 v[4:7], v254 offset:43008
	s_waitcnt lgkmcnt(0)
	v_mul_f64 v[20:21], v[242:243], v[6:7]
	s_delay_alu instid0(VALU_DEP_1) | instskip(SKIP_1) | instid1(VALU_DEP_1)
	v_fma_f64 v[40:41], v[240:241], v[4:5], v[20:21]
	v_mul_f64 v[4:5], v[242:243], v[4:5]
	v_fma_f64 v[42:43], v[240:241], v[6:7], -v[4:5]
	ds_load_b128 v[4:7], v254 offset:45056
	s_waitcnt lgkmcnt(0)
	;; [unrolled: 7-line block ×9, first 2 shown]
	v_mul_f64 v[20:21], v[181:182], v[6:7]
	s_delay_alu instid0(VALU_DEP_1) | instskip(SKIP_1) | instid1(VALU_DEP_2)
	v_fma_f64 v[116:117], v[179:180], v[4:5], v[20:21]
	v_mul_f64 v[4:5], v[181:182], v[4:5]
	v_add_f64 v[116:117], v[112:113], -v[116:117]
	s_delay_alu instid0(VALU_DEP_2)
	v_fma_f64 v[118:119], v[179:180], v[6:7], -v[4:5]
	ds_load_b128 v[4:7], v254
	s_waitcnt lgkmcnt(0)
	v_add_f64 v[100:101], v[4:5], -v[0:1]
	v_add_f64 v[102:103], v[6:7], -v[2:3]
	v_fma_f64 v[112:113], v[112:113], 2.0, -v[116:117]
	v_add_f64 v[118:119], v[114:115], -v[118:119]
	s_delay_alu instid0(VALU_DEP_4) | instskip(NEXT) | instid1(VALU_DEP_4)
	v_fma_f64 v[0:1], v[4:5], 2.0, -v[100:101]
	v_fma_f64 v[2:3], v[6:7], 2.0, -v[102:103]
	ds_load_b128 v[4:7], v254 offset:2048
	v_fma_f64 v[114:115], v[114:115], 2.0, -v[118:119]
	s_waitcnt lgkmcnt(0)
	v_add_f64 v[20:21], v[4:5], -v[8:9]
	v_add_f64 v[22:23], v[6:7], -v[10:11]
	ds_load_b128 v[8:11], v254 offset:4096
	s_waitcnt lgkmcnt(0)
	v_add_f64 v[28:29], v[8:9], -v[12:13]
	v_add_f64 v[30:31], v[10:11], -v[14:15]
	ds_load_b128 v[12:15], v254 offset:6144
	v_fma_f64 v[4:5], v[4:5], 2.0, -v[20:21]
	v_fma_f64 v[6:7], v[6:7], 2.0, -v[22:23]
	s_waitcnt lgkmcnt(0)
	v_add_f64 v[36:37], v[12:13], -v[16:17]
	v_add_f64 v[38:39], v[14:15], -v[18:19]
	ds_load_b128 v[16:19], v254 offset:8192
	v_fma_f64 v[8:9], v[8:9], 2.0, -v[28:29]
	v_fma_f64 v[10:11], v[10:11], 2.0, -v[30:31]
	;; [unrolled: 6-line block ×11, first 2 shown]
	s_waitcnt lgkmcnt(0)
	v_add_f64 v[108:109], v[88:89], -v[108:109]
	v_add_f64 v[110:111], v[90:91], -v[110:111]
	v_fma_f64 v[80:81], v[80:81], 2.0, -v[104:105]
	v_fma_f64 v[82:83], v[82:83], 2.0, -v[106:107]
	s_delay_alu instid0(VALU_DEP_4) | instskip(NEXT) | instid1(VALU_DEP_4)
	v_fma_f64 v[88:89], v[88:89], 2.0, -v[108:109]
	v_fma_f64 v[90:91], v[90:91], 2.0, -v[110:111]
	ds_store_b128 v254, v[100:103] offset:30720
	ds_store_b128 v254, v[20:23] offset:32768
	;; [unrolled: 1-line block ×15, first 2 shown]
	ds_store_b128 v254, v[0:3]
	ds_store_b128 v254, v[4:7] offset:2048
	ds_store_b128 v254, v[8:11] offset:4096
	;; [unrolled: 1-line block ×14, first 2 shown]
	s_waitcnt lgkmcnt(0)
	s_barrier
	buffer_gl0_inv
	s_clause 0x1
	scratch_load_b128 v[6:9], off, off offset:136
	scratch_load_b128 v[10:13], off, off offset:200
	ds_load_b128 v[0:3], v254
	s_clause 0x10
	scratch_load_b128 v[14:17], off, off offset:216
	scratch_load_b128 v[18:21], off, off offset:232
	;; [unrolled: 1-line block ×17, first 2 shown]
	s_waitcnt vmcnt(18) lgkmcnt(0)
	v_mul_f64 v[4:5], v[8:9], v[2:3]
	s_delay_alu instid0(VALU_DEP_1) | instskip(SKIP_1) | instid1(VALU_DEP_1)
	v_fma_f64 v[112:113], v[6:7], v[0:1], v[4:5]
	v_mul_f64 v[0:1], v[8:9], v[0:1]
	v_fma_f64 v[114:115], v[6:7], v[2:3], -v[0:1]
	scratch_load_b128 v[6:9], off, off offset:120 ; 16-byte Folded Reload
	ds_load_b128 v[0:3], v254 offset:6144
	s_waitcnt vmcnt(0) lgkmcnt(0)
	v_mul_f64 v[4:5], v[8:9], v[2:3]
	s_delay_alu instid0(VALU_DEP_1) | instskip(SKIP_1) | instid1(VALU_DEP_1)
	v_fma_f64 v[116:117], v[6:7], v[0:1], v[4:5]
	v_mul_f64 v[0:1], v[8:9], v[0:1]
	v_fma_f64 v[118:119], v[6:7], v[2:3], -v[0:1]
	scratch_load_b128 v[6:9], off, off offset:104 ; 16-byte Folded Reload
	ds_load_b128 v[0:3], v254 offset:12288
	;; [unrolled: 8-line block ×11, first 2 shown]
	s_waitcnt vmcnt(0) lgkmcnt(0)
	v_mul_f64 v[0:1], v[8:9], v[4:5]
	s_delay_alu instid0(VALU_DEP_1) | instskip(SKIP_1) | instid1(VALU_DEP_1)
	v_fma_f64 v[0:1], v[6:7], v[2:3], v[0:1]
	v_mul_f64 v[2:3], v[8:9], v[2:3]
	v_fma_f64 v[2:3], v[6:7], v[4:5], -v[2:3]
	ds_load_b128 v[6:9], v254 offset:14336
	s_waitcnt lgkmcnt(0)
	v_mul_f64 v[4:5], v[12:13], v[8:9]
	s_delay_alu instid0(VALU_DEP_1) | instskip(SKIP_1) | instid1(VALU_DEP_1)
	v_fma_f64 v[4:5], v[10:11], v[6:7], v[4:5]
	v_mul_f64 v[6:7], v[12:13], v[6:7]
	v_fma_f64 v[6:7], v[10:11], v[8:9], -v[6:7]
	ds_load_b128 v[10:13], v254 offset:20480
	s_waitcnt lgkmcnt(0)
	;; [unrolled: 7-line block ×18, first 2 shown]
	v_mul_f64 v[72:73], v[126:127], v[122:123]
	v_mul_f64 v[74:75], v[126:127], v[120:121]
	s_delay_alu instid0(VALU_DEP_2) | instskip(NEXT) | instid1(VALU_DEP_2)
	v_fma_f64 v[72:73], v[124:125], v[120:121], v[72:73]
	v_fma_f64 v[74:75], v[124:125], v[122:123], -v[74:75]
	scratch_load_b64 v[124:125], off, off   ; 8-byte Folded Reload
	s_waitcnt vmcnt(0)
	v_mad_u64_u32 v[120:121], null, s6, v124, 0
	s_mul_hi_u32 s6, s4, 0x1800
	s_delay_alu instid0(SALU_CYCLE_1) | instskip(NEXT) | instid1(VALU_DEP_1)
	s_add_i32 s2, s6, s2
	v_mad_u64_u32 v[122:123], null, s7, v124, v[121:122]
	s_delay_alu instid0(VALU_DEP_1) | instskip(SKIP_1) | instid1(VALU_DEP_2)
	v_mov_b32_e32 v121, v122
	v_mad_u64_u32 v[122:123], null, s4, v253, 0
	v_lshlrev_b64 v[120:121], 4, v[120:121]
	s_delay_alu instid0(VALU_DEP_2) | instskip(SKIP_1) | instid1(SALU_CYCLE_1)
	v_mad_u64_u32 v[124:125], null, s5, v253, v[123:124]
	s_mul_i32 s5, s5, 0xffff3000
	s_sub_i32 s5, s5, s4
	s_delay_alu instid0(VALU_DEP_1) | instskip(NEXT) | instid1(VALU_DEP_3)
	v_mov_b32_e32 v123, v124
	v_add_co_u32 v124, vcc_lo, s0, v120
	v_add_co_ci_u32_e32 v125, vcc_lo, s1, v121, vcc_lo
	s_mov_b32 s0, 0x11111111
	s_mov_b32 s1, 0x3f311111
	v_lshlrev_b64 v[120:121], 4, v[122:123]
	v_mul_f64 v[112:113], v[112:113], s[0:1]
	v_mul_f64 v[114:115], v[114:115], s[0:1]
	;; [unrolled: 1-line block ×5, first 2 shown]
	v_add_co_u32 v120, vcc_lo, v124, v120
	v_add_co_ci_u32_e32 v121, vcc_lo, v125, v121, vcc_lo
	v_mul_f64 v[88:89], v[88:89], s[0:1]
	v_mul_f64 v[90:91], v[90:91], s[0:1]
	;; [unrolled: 1-line block ×30, first 2 shown]
	global_store_b128 v[120:121], v[112:115], off
	v_mul_f64 v[112:113], v[116:117], s[0:1]
	v_mul_f64 v[114:115], v[118:119], s[0:1]
	v_add_co_u32 v116, vcc_lo, v120, s3
	v_add_co_ci_u32_e32 v117, vcc_lo, s2, v121, vcc_lo
	v_mul_f64 v[44:45], v[44:45], s[0:1]
	v_mul_f64 v[46:47], v[46:47], s[0:1]
	;; [unrolled: 1-line block ×16, first 2 shown]
	global_store_b128 v[116:117], v[112:115], off
	v_add_co_u32 v112, vcc_lo, v116, s3
	v_add_co_ci_u32_e32 v113, vcc_lo, s2, v117, vcc_lo
	global_store_b128 v[112:113], v[108:111], off
	v_mul_f64 v[108:109], v[94:95], s[0:1]
	v_mul_f64 v[110:111], v[100:101], s[0:1]
	;; [unrolled: 1-line block ×6, first 2 shown]
	v_add_co_u32 v112, vcc_lo, v112, s3
	v_add_co_ci_u32_e32 v113, vcc_lo, s2, v113, vcc_lo
	s_delay_alu instid0(VALU_DEP_2) | instskip(NEXT) | instid1(VALU_DEP_2)
	v_add_co_u32 v104, vcc_lo, v112, s3
	v_add_co_ci_u32_e32 v105, vcc_lo, s2, v113, vcc_lo
	s_delay_alu instid0(VALU_DEP_2) | instskip(NEXT) | instid1(VALU_DEP_2)
	v_add_co_u32 v106, vcc_lo, v104, s3
	v_add_co_ci_u32_e32 v107, vcc_lo, s2, v105, vcc_lo
	s_clause 0x1
	global_store_b128 v[112:113], v[108:111], off
	global_store_b128 v[104:105], v[94:97], off
	v_add_co_u32 v96, vcc_lo, v106, s3
	v_mul_f64 v[94:95], v[98:99], s[0:1]
	v_add_co_ci_u32_e32 v97, vcc_lo, s2, v107, vcc_lo
	s_delay_alu instid0(VALU_DEP_3) | instskip(SKIP_3) | instid1(VALU_DEP_2)
	v_add_co_u32 v98, vcc_lo, v96, s3
	global_store_b128 v[106:107], v[100:103], off
	v_add_co_ci_u32_e32 v99, vcc_lo, s2, v97, vcc_lo
	v_add_co_u32 v104, vcc_lo, v98, s3
	v_add_co_ci_u32_e32 v105, vcc_lo, s2, v99, vcc_lo
	s_delay_alu instid0(VALU_DEP_2) | instskip(NEXT) | instid1(VALU_DEP_2)
	v_add_co_u32 v100, vcc_lo, v104, s3
	v_add_co_ci_u32_e32 v101, vcc_lo, s2, v105, vcc_lo
	s_delay_alu instid0(VALU_DEP_1) | instskip(NEXT) | instid1(VALU_DEP_1)
	v_mad_u64_u32 v[102:103], null, 0xffff3000, s4, v[100:101]
	v_add_nc_u32_e32 v103, s5, v103
	s_delay_alu instid0(VALU_DEP_2) | instskip(NEXT) | instid1(VALU_DEP_2)
	v_add_co_u32 v106, vcc_lo, v102, s3
	v_add_co_ci_u32_e32 v107, vcc_lo, s2, v103, vcc_lo
	global_store_b128 v[96:97], v[92:95], off
	v_add_co_u32 v92, vcc_lo, v106, s3
	v_add_co_ci_u32_e32 v93, vcc_lo, s2, v107, vcc_lo
	global_store_b128 v[98:99], v[88:91], off
	;; [unrolled: 3-line block ×6, first 2 shown]
	v_add_co_u32 v98, vcc_lo, v90, s3
	v_add_co_ci_u32_e32 v99, vcc_lo, s2, v91, vcc_lo
	s_delay_alu instid0(VALU_DEP_2) | instskip(NEXT) | instid1(VALU_DEP_2)
	v_add_co_u32 v84, vcc_lo, v98, s3
	v_add_co_ci_u32_e32 v85, vcc_lo, s2, v99, vcc_lo
	s_delay_alu instid0(VALU_DEP_2) | instskip(NEXT) | instid1(VALU_DEP_2)
	v_add_co_u32 v86, vcc_lo, v84, s3
	v_add_co_ci_u32_e32 v87, vcc_lo, s2, v85, vcc_lo
	s_delay_alu instid0(VALU_DEP_1) | instskip(NEXT) | instid1(VALU_DEP_1)
	v_mad_u64_u32 v[104:105], null, 0xffff3000, s4, v[86:87]
	v_add_nc_u32_e32 v105, s5, v105
	s_delay_alu instid0(VALU_DEP_2) | instskip(NEXT) | instid1(VALU_DEP_2)
	v_add_co_u32 v80, vcc_lo, v104, s3
	v_add_co_ci_u32_e32 v81, vcc_lo, s2, v105, vcc_lo
	s_delay_alu instid0(VALU_DEP_2) | instskip(NEXT) | instid1(VALU_DEP_2)
	v_add_co_u32 v82, vcc_lo, v80, s3
	v_add_co_ci_u32_e32 v83, vcc_lo, s2, v81, vcc_lo
	;; [unrolled: 3-line block ×9, first 2 shown]
	global_store_b128 v[92:93], v[4:7], off
	global_store_b128 v[94:95], v[8:11], off
	;; [unrolled: 1-line block ×18, first 2 shown]
.LBB0_2:
	s_nop 0
	s_sendmsg sendmsg(MSG_DEALLOC_VGPRS)
	s_endpgm
	.section	.rodata,"a",@progbits
	.p2align	6, 0x0
	.amdhsa_kernel bluestein_single_fwd_len3840_dim1_dp_op_CI_CI
		.amdhsa_group_segment_fixed_size 61440
		.amdhsa_private_segment_fixed_size 2216
		.amdhsa_kernarg_size 104
		.amdhsa_user_sgpr_count 15
		.amdhsa_user_sgpr_dispatch_ptr 0
		.amdhsa_user_sgpr_queue_ptr 0
		.amdhsa_user_sgpr_kernarg_segment_ptr 1
		.amdhsa_user_sgpr_dispatch_id 0
		.amdhsa_user_sgpr_private_segment_size 0
		.amdhsa_wavefront_size32 1
		.amdhsa_uses_dynamic_stack 0
		.amdhsa_enable_private_segment 1
		.amdhsa_system_sgpr_workgroup_id_x 1
		.amdhsa_system_sgpr_workgroup_id_y 0
		.amdhsa_system_sgpr_workgroup_id_z 0
		.amdhsa_system_sgpr_workgroup_info 0
		.amdhsa_system_vgpr_workitem_id 0
		.amdhsa_next_free_vgpr 256
		.amdhsa_next_free_sgpr 31
		.amdhsa_reserve_vcc 1
		.amdhsa_float_round_mode_32 0
		.amdhsa_float_round_mode_16_64 0
		.amdhsa_float_denorm_mode_32 3
		.amdhsa_float_denorm_mode_16_64 3
		.amdhsa_dx10_clamp 1
		.amdhsa_ieee_mode 1
		.amdhsa_fp16_overflow 0
		.amdhsa_workgroup_processor_mode 1
		.amdhsa_memory_ordered 1
		.amdhsa_forward_progress 0
		.amdhsa_shared_vgpr_count 0
		.amdhsa_exception_fp_ieee_invalid_op 0
		.amdhsa_exception_fp_denorm_src 0
		.amdhsa_exception_fp_ieee_div_zero 0
		.amdhsa_exception_fp_ieee_overflow 0
		.amdhsa_exception_fp_ieee_underflow 0
		.amdhsa_exception_fp_ieee_inexact 0
		.amdhsa_exception_int_div_zero 0
	.end_amdhsa_kernel
	.text
.Lfunc_end0:
	.size	bluestein_single_fwd_len3840_dim1_dp_op_CI_CI, .Lfunc_end0-bluestein_single_fwd_len3840_dim1_dp_op_CI_CI
                                        ; -- End function
	.section	.AMDGPU.csdata,"",@progbits
; Kernel info:
; codeLenInByte = 52924
; NumSgprs: 33
; NumVgprs: 256
; ScratchSize: 2216
; MemoryBound: 0
; FloatMode: 240
; IeeeMode: 1
; LDSByteSize: 61440 bytes/workgroup (compile time only)
; SGPRBlocks: 4
; VGPRBlocks: 31
; NumSGPRsForWavesPerEU: 33
; NumVGPRsForWavesPerEU: 256
; Occupancy: 2
; WaveLimiterHint : 1
; COMPUTE_PGM_RSRC2:SCRATCH_EN: 1
; COMPUTE_PGM_RSRC2:USER_SGPR: 15
; COMPUTE_PGM_RSRC2:TRAP_HANDLER: 0
; COMPUTE_PGM_RSRC2:TGID_X_EN: 1
; COMPUTE_PGM_RSRC2:TGID_Y_EN: 0
; COMPUTE_PGM_RSRC2:TGID_Z_EN: 0
; COMPUTE_PGM_RSRC2:TIDIG_COMP_CNT: 0
	.text
	.p2alignl 7, 3214868480
	.fill 96, 4, 3214868480
	.type	__hip_cuid_928bb389c668dbd3,@object ; @__hip_cuid_928bb389c668dbd3
	.section	.bss,"aw",@nobits
	.globl	__hip_cuid_928bb389c668dbd3
__hip_cuid_928bb389c668dbd3:
	.byte	0                               ; 0x0
	.size	__hip_cuid_928bb389c668dbd3, 1

	.ident	"AMD clang version 19.0.0git (https://github.com/RadeonOpenCompute/llvm-project roc-6.4.0 25133 c7fe45cf4b819c5991fe208aaa96edf142730f1d)"
	.section	".note.GNU-stack","",@progbits
	.addrsig
	.addrsig_sym __hip_cuid_928bb389c668dbd3
	.amdgpu_metadata
---
amdhsa.kernels:
  - .args:
      - .actual_access:  read_only
        .address_space:  global
        .offset:         0
        .size:           8
        .value_kind:     global_buffer
      - .actual_access:  read_only
        .address_space:  global
        .offset:         8
        .size:           8
        .value_kind:     global_buffer
      - .actual_access:  read_only
        .address_space:  global
        .offset:         16
        .size:           8
        .value_kind:     global_buffer
      - .actual_access:  read_only
        .address_space:  global
        .offset:         24
        .size:           8
        .value_kind:     global_buffer
      - .actual_access:  read_only
        .address_space:  global
        .offset:         32
        .size:           8
        .value_kind:     global_buffer
      - .offset:         40
        .size:           8
        .value_kind:     by_value
      - .address_space:  global
        .offset:         48
        .size:           8
        .value_kind:     global_buffer
      - .address_space:  global
        .offset:         56
        .size:           8
        .value_kind:     global_buffer
      - .address_space:  global
        .offset:         64
        .size:           8
        .value_kind:     global_buffer
      - .address_space:  global
        .offset:         72
        .size:           8
        .value_kind:     global_buffer
      - .offset:         80
        .size:           4
        .value_kind:     by_value
      - .address_space:  global
        .offset:         88
        .size:           8
        .value_kind:     global_buffer
      - .address_space:  global
        .offset:         96
        .size:           8
        .value_kind:     global_buffer
    .group_segment_fixed_size: 61440
    .kernarg_segment_align: 8
    .kernarg_segment_size: 104
    .language:       OpenCL C
    .language_version:
      - 2
      - 0
    .max_flat_workgroup_size: 128
    .name:           bluestein_single_fwd_len3840_dim1_dp_op_CI_CI
    .private_segment_fixed_size: 2216
    .sgpr_count:     33
    .sgpr_spill_count: 0
    .symbol:         bluestein_single_fwd_len3840_dim1_dp_op_CI_CI.kd
    .uniform_work_group_size: 1
    .uses_dynamic_stack: false
    .vgpr_count:     256
    .vgpr_spill_count: 553
    .wavefront_size: 32
    .workgroup_processor_mode: 1
amdhsa.target:   amdgcn-amd-amdhsa--gfx1100
amdhsa.version:
  - 1
  - 2
...

	.end_amdgpu_metadata
